;; amdgpu-corpus repo=ROCm/rocFFT kind=compiled arch=gfx950 opt=O3
	.text
	.amdgcn_target "amdgcn-amd-amdhsa--gfx950"
	.amdhsa_code_object_version 6
	.protected	bluestein_single_back_len1014_dim1_sp_op_CI_CI ; -- Begin function bluestein_single_back_len1014_dim1_sp_op_CI_CI
	.globl	bluestein_single_back_len1014_dim1_sp_op_CI_CI
	.p2align	8
	.type	bluestein_single_back_len1014_dim1_sp_op_CI_CI,@function
bluestein_single_back_len1014_dim1_sp_op_CI_CI: ; @bluestein_single_back_len1014_dim1_sp_op_CI_CI
; %bb.0:
	s_load_dwordx4 s[16:19], s[0:1], 0x28
	v_mul_u32_u24_e32 v1, 0x349, v0
	v_lshrrev_b32_e32 v1, 16, v1
	v_lshl_add_u32 v10, s2, 1, v1
	v_mov_b32_e32 v11, 0
	s_waitcnt lgkmcnt(0)
	v_cmp_gt_u64_e32 vcc, s[16:17], v[10:11]
	s_and_saveexec_b64 s[2:3], vcc
	s_cbranch_execz .LBB0_12
; %bb.1:
	s_load_dwordx4 s[4:7], s[0:1], 0x18
	s_load_dwordx4 s[8:11], s[0:1], 0x0
	v_mul_lo_u16_e32 v4, 0x4e, v1
	v_sub_u16_e32 v84, v0, v4
	v_mov_b32_e32 v2, s18
	s_waitcnt lgkmcnt(0)
	s_load_dwordx4 s[12:15], s[4:5], 0x0
	v_mov_b32_e32 v3, s19
	v_lshlrev_b32_e32 v60, 3, v84
	v_accvgpr_write_b32 a0, v10
	v_mov_b32_e32 v61, v11
	s_waitcnt lgkmcnt(0)
	v_mad_u64_u32 v[4:5], s[2:3], s14, v10, 0
	v_mov_b32_e32 v0, v5
	v_mad_u64_u32 v[6:7], s[2:3], s15, v10, v[0:1]
	v_mov_b32_e32 v5, v6
	v_mad_u64_u32 v[6:7], s[2:3], s12, v84, 0
	v_mov_b32_e32 v0, v7
	v_mad_u64_u32 v[8:9], s[2:3], s13, v84, v[0:1]
	v_mov_b32_e32 v7, v8
	v_lshl_add_u64 v[2:3], v[4:5], 3, v[2:3]
	v_lshl_add_u64 v[2:3], v[6:7], 3, v[2:3]
	v_mov_b32_e32 v0, 0x270
	global_load_dwordx2 v[4:5], v[2:3], off
	v_mad_u64_u32 v[2:3], s[2:3], s12, v0, v[2:3]
	s_mul_i32 s2, s13, 0x270
	s_nop 0
	v_add_u32_e32 v3, s2, v3
	global_load_dwordx2 v[6:7], v[2:3], off
	global_load_dwordx2 v[100:101], v60, s[8:9]
	v_mad_u64_u32 v[2:3], s[4:5], s12, v0, v[2:3]
	v_add_u32_e32 v3, s2, v3
	v_mad_u64_u32 v[10:11], s[4:5], s12, v0, v[2:3]
	v_add_u32_e32 v11, s2, v11
	;; [unrolled: 2-line block ×3, first 2 shown]
	global_load_dwordx2 v[108:109], v60, s[8:9] offset:624
	global_load_dwordx2 v[106:107], v60, s[8:9] offset:1248
	;; [unrolled: 1-line block ×6, first 2 shown]
	global_load_dwordx2 v[14:15], v[12:13], off
	v_mad_u64_u32 v[12:13], s[4:5], s12, v0, v[12:13]
	global_load_dwordx2 v[2:3], v[2:3], off
	v_add_u32_e32 v13, s2, v13
	global_load_dwordx2 v[10:11], v[10:11], off
	s_movk_i32 s3, 0x1000
	global_load_dwordx2 v[16:17], v[12:13], off
	v_mad_u64_u32 v[12:13], s[4:5], s12, v0, v[12:13]
	v_add_u32_e32 v13, s2, v13
	v_lshl_add_u64 v[8:9], s[8:9], 0, v[60:61]
	global_load_dwordx2 v[18:19], v[12:13], off
	v_mad_u64_u32 v[12:13], s[4:5], s12, v0, v[12:13]
	v_add_co_u32_e32 v8, vcc, s3, v8
	v_add_u32_e32 v13, s2, v13
	s_nop 0
	v_addc_co_u32_e32 v9, vcc, 0, v9, vcc
	global_load_dwordx2 v[20:21], v[12:13], off
	global_load_dwordx2 v[102:103], v[8:9], off offset:272
	v_mad_u64_u32 v[12:13], s[4:5], s12, v0, v[12:13]
	v_add_u32_e32 v13, s2, v13
	global_load_dwordx2 v[22:23], v[12:13], off
	global_load_dwordx2 v[96:97], v[8:9], off offset:896
	v_mad_u64_u32 v[12:13], s[4:5], s12, v0, v[12:13]
	v_add_u32_e32 v13, s2, v13
	global_load_dwordx2 v[24:25], v[12:13], off
	global_load_dwordx2 v[92:93], v[8:9], off offset:1520
	global_load_dwordx2 v[34:35], v[8:9], off offset:2144
	v_mad_u64_u32 v[12:13], s[4:5], s12, v0, v[12:13]
	v_add_u32_e32 v13, s2, v13
	global_load_dwordx2 v[26:27], v[12:13], off
	v_mad_u64_u32 v[12:13], s[4:5], s12, v0, v[12:13]
	v_add_u32_e32 v13, s2, v13
	global_load_dwordx2 v[28:29], v[12:13], off
	global_load_dwordx2 v[90:91], v[8:9], off offset:2768
	v_mad_u64_u32 v[12:13], s[4:5], s12, v0, v[12:13]
	v_add_u32_e32 v13, s2, v13
	global_load_dwordx2 v[32:33], v[8:9], off offset:3392
	global_load_dwordx2 v[30:31], v[12:13], off
	s_load_dwordx4 s[4:7], s[6:7], 0x0
	s_mov_b32 s19, 0x3f62ad3f
	s_mov_b32 s18, 0xbeedf032
	;; [unrolled: 1-line block ×18, first 2 shown]
	s_waitcnt vmcnt(23)
	v_mul_f32_e32 v0, v4, v101
	v_fma_f32 v9, v5, v100, -v0
	v_mul_f32_e32 v8, v5, v101
	v_fmac_f32_e32 v8, v4, v100
	s_waitcnt vmcnt(22)
	v_mul_f32_e32 v0, v6, v109
	v_fma_f32 v5, v7, v108, -v0
	v_and_b32_e32 v0, 1, v1
	v_mov_b32_e32 v1, 0x1fb0
	v_cmp_eq_u32_e32 vcc, 1, v0
	v_mul_f32_e32 v4, v7, v109
	v_fmac_f32_e32 v4, v6, v108
	v_cndmask_b32_e32 v42, 0, v1, vcc
	v_add_u32_e32 v81, v42, v60
	s_waitcnt vmcnt(15)
	v_mul_f32_e32 v0, v3, v107
	v_mul_f32_e32 v1, v2, v107
	v_fmac_f32_e32 v0, v2, v106
	v_fma_f32 v1, v3, v106, -v1
	s_waitcnt vmcnt(14)
	v_mul_f32_e32 v2, v11, v105
	v_mul_f32_e32 v3, v10, v105
	v_fmac_f32_e32 v2, v10, v104
	v_fma_f32 v3, v11, v104, -v3
	ds_write2_b64 v81, v[8:9], v[4:5] offset1:78
	ds_write2_b64 v81, v[0:1], v[2:3] offset0:156 offset1:234
	v_mul_f32_e32 v0, v15, v99
	v_mul_f32_e32 v1, v14, v99
	s_waitcnt vmcnt(13)
	v_mul_f32_e32 v2, v17, v95
	v_mul_f32_e32 v3, v16, v95
	v_fmac_f32_e32 v0, v14, v98
	v_fma_f32 v1, v15, v98, -v1
	v_fmac_f32_e32 v2, v16, v94
	v_fma_f32 v3, v17, v94, -v3
	v_add_u32_e32 v128, 0x800, v81
	ds_write2_b64 v128, v[0:1], v[2:3] offset0:56 offset1:134
	s_waitcnt vmcnt(12)
	v_mul_f32_e32 v0, v19, v37
	v_mul_f32_e32 v1, v18, v37
	s_waitcnt vmcnt(10)
	v_mul_f32_e32 v2, v21, v103
	v_mul_f32_e32 v3, v20, v103
	v_fmac_f32_e32 v0, v18, v36
	v_fma_f32 v1, v19, v36, -v1
	v_fmac_f32_e32 v2, v20, v102
	v_fma_f32 v3, v21, v102, -v3
	v_add_u32_e32 v129, 0xc00, v81
	ds_write2_b64 v129, v[0:1], v[2:3] offset0:84 offset1:162
	s_waitcnt vmcnt(8)
	;; [unrolled: 12-line block ×4, first 2 shown]
	v_mul_f32_e32 v0, v31, v33
	v_mul_f32_e32 v1, v30, v33
	v_fmac_f32_e32 v0, v30, v32
	v_fma_f32 v1, v31, v32, -v1
	ds_write_b64 v81, v[0:1] offset:7488
	s_waitcnt lgkmcnt(0)
	s_barrier
	ds_read2_b64 v[0:3], v81 offset1:78
	ds_read2_b64 v[4:7], v128 offset0:56 offset1:134
	ds_read2_b64 v[8:11], v130 offset0:112 offset1:190
	;; [unrolled: 1-line block ×3, first 2 shown]
	v_accvgpr_write_b32 a4, v34
	s_waitcnt lgkmcnt(3)
	v_pk_add_f32 v[16:17], v[0:1], v[2:3]
	v_accvgpr_write_b32 a5, v35
	s_waitcnt lgkmcnt(1)
	v_pk_add_f32 v[22:23], v[10:11], v[4:5]
	s_waitcnt lgkmcnt(0)
	v_pk_add_f32 v[16:17], v[16:17], v[12:13]
	v_pk_add_f32 v[24:25], v[4:5], v[10:11] neg_lo:[0,1] neg_hi:[0,1]
	v_pk_add_f32 v[16:17], v[16:17], v[14:15]
	v_pk_add_f32 v[34:35], v[8:9], v[6:7]
	;; [unrolled: 1-line block ×3, first 2 shown]
	ds_read2_b64 v[16:19], v129 offset0:84 offset1:162
	v_pk_add_f32 v[20:21], v[4:5], v[6:7]
	v_pk_add_f32 v[40:41], v[6:7], v[8:9] neg_lo:[0,1] neg_hi:[0,1]
	ds_read2_b64 v[4:7], v61 offset0:12 offset1:90
	v_accvgpr_write_b32 a8, v36
	s_waitcnt lgkmcnt(1)
	v_pk_add_f32 v[20:21], v[20:21], v[16:17]
	v_accvgpr_write_b32 a9, v37
	v_pk_add_f32 v[20:21], v[20:21], v[18:19]
	s_waitcnt lgkmcnt(0)
	v_pk_add_f32 v[36:37], v[4:5], v[14:15]
	v_pk_add_f32 v[8:9], v[20:21], v[8:9]
	v_pk_add_f32 v[46:47], v[14:15], v[4:5] neg_lo:[0,1] neg_hi:[0,1]
	v_pk_add_f32 v[8:9], v[8:9], v[10:11]
	ds_read_b64 v[10:11], v81 offset:7488
	v_pk_add_f32 v[4:5], v[8:9], v[4:5]
	v_pk_add_f32 v[28:29], v[12:13], v[6:7] neg_lo:[0,1] neg_hi:[0,1]
	v_pk_add_f32 v[4:5], v[4:5], v[6:7]
	v_pk_add_f32 v[30:31], v[6:7], v[12:13]
	s_waitcnt lgkmcnt(0)
	v_pk_add_f32 v[66:67], v[10:11], v[2:3]
	v_pk_add_f32 v[2:3], v[2:3], v[10:11] neg_lo:[0,1] neg_hi:[0,1]
	v_pk_add_f32 v[26:27], v[4:5], v[10:11]
	v_mov_b32_e32 v5, v67
	v_mov_b32_e32 v67, v2
	;; [unrolled: 1-line block ×3, first 2 shown]
	v_pk_mul_f32 v[58:59], v[66:67], s[12:13]
	v_pk_mul_f32 v[2:3], v[28:29], s[2:3] op_sel:[1,0] op_sel_hi:[0,0]
	v_pk_fma_f32 v[6:7], v[4:5], s[18:19], v[58:59] neg_lo:[1,0,0] neg_hi:[1,0,0]
	v_pk_fma_f32 v[8:9], v[4:5], s[18:19], v[58:59]
	v_pk_fma_f32 v[10:11], v[30:31], s[22:23], v[2:3] op_sel_hi:[1,0,1] neg_lo:[0,0,1] neg_hi:[0,0,1]
	v_pk_fma_f32 v[2:3], v[30:31], s[22:23], v[2:3] op_sel_hi:[1,0,1]
	v_mov_b32_e32 v7, v9
	v_pk_add_f32 v[12:13], v[0:1], v[6:7]
	v_mov_b32_e32 v7, v11
	v_mov_b32_e32 v11, v3
	v_pk_add_f32 v[12:13], v[10:11], v[12:13]
	v_pk_mul_f32 v[10:11], v[46:47], s[16:17] op_sel_hi:[1,0]
	s_mov_b32 s12, 0xbf6f5d39
	v_pk_fma_f32 v[14:15], v[36:37], s[26:27], v[10:11] op_sel:[0,0,1] op_sel_hi:[1,0,0] neg_lo:[0,0,1] neg_hi:[0,0,1]
	v_pk_fma_f32 v[10:11], v[36:37], s[26:27], v[10:11] op_sel:[0,0,1] op_sel_hi:[1,0,0]
	v_mov_b32_e32 v3, v15
	v_mov_b32_e32 v15, v11
	v_pk_add_f32 v[64:65], v[18:19], v[16:17]
	v_pk_add_f32 v[70:71], v[16:17], v[18:19] neg_lo:[0,1] neg_hi:[0,1]
	v_pk_add_f32 v[16:17], v[14:15], v[12:13]
	v_pk_mul_f32 v[12:13], v[24:25], s[12:13] op_sel_hi:[1,0]
	v_accvgpr_write_b32 a2, v32
	v_pk_fma_f32 v[18:19], v[22:23], s[30:31], v[12:13] op_sel:[0,0,1] op_sel_hi:[1,0,0] neg_lo:[0,0,1] neg_hi:[0,0,1]
	v_pk_fma_f32 v[12:13], v[22:23], s[30:31], v[12:13] op_sel:[0,0,1] op_sel_hi:[1,0,0]
	v_mov_b32_e32 v15, v19
	v_mov_b32_e32 v19, v13
	v_pk_add_f32 v[20:21], v[18:19], v[16:17]
	v_pk_mul_f32 v[16:17], v[40:41], s[20:21] op_sel_hi:[1,0]
	v_accvgpr_write_b32 a3, v33
	v_pk_fma_f32 v[32:33], v[34:35], s[24:25], v[16:17] op_sel:[0,0,1] op_sel_hi:[1,0,0] neg_lo:[0,0,1] neg_hi:[0,0,1]
	v_pk_fma_f32 v[18:19], v[34:35], s[24:25], v[16:17] op_sel:[0,0,1] op_sel_hi:[1,0,0]
	v_mov_b32_e32 v17, v33
	v_mov_b32_e32 v33, v19
	v_pk_add_f32 v[32:33], v[32:33], v[20:21]
	v_pk_mul_f32 v[20:21], v[70:71], s[14:15] op_sel_hi:[1,0]
	v_mul_lo_u16_e32 v6, 13, v84
	v_pk_fma_f32 v[38:39], v[64:65], s[34:35], v[20:21] op_sel:[0,0,1] op_sel_hi:[1,0,0] neg_lo:[0,0,1] neg_hi:[0,0,1]
	v_pk_fma_f32 v[20:21], v[64:65], s[34:35], v[20:21] op_sel:[0,0,1] op_sel_hi:[1,0,0]
	v_mov_b32_e32 v13, v39
	v_mov_b32_e32 v39, v21
	v_pk_add_f32 v[32:33], v[38:39], v[32:33]
	v_lshl_add_u32 v202, v6, 3, v42
	s_mov_b32 s23, s2
	s_barrier
	ds_write2_b64 v202, v[26:27], v[32:33] offset1:1
	s_mov_b32 s3, s22
	v_pk_mul_f32 v[56:57], v[66:67], s[22:23]
	v_mov_b32_e32 v27, v31
	v_mov_b32_e32 v31, v28
	s_mov_b32 s31, s12
	v_accvgpr_write_b32 a1, v42
	v_pk_fma_f32 v[42:43], v[4:5], s[2:3], v[56:57] neg_lo:[1,0,0] neg_hi:[1,0,0]
	v_pk_fma_f32 v[50:51], v[4:5], s[2:3], v[56:57]
	v_mov_b32_e32 v26, v29
	s_mov_b32 s13, s30
	v_pk_mul_f32 v[38:39], v[30:31], s[30:31]
	v_mov_b32_e32 v43, v51
	v_pk_fma_f32 v[44:45], v[28:29], s[12:13], v[38:39] op_sel:[1,0,0] op_sel_hi:[0,1,1] neg_lo:[1,0,0] neg_hi:[1,0,0]
	v_pk_fma_f32 v[32:33], v[26:27], s[12:13], v[38:39]
	v_pk_add_f32 v[42:43], v[0:1], v[42:43]
	v_mov_b32_e32 v45, v33
	v_pk_add_f32 v[48:49], v[44:45], v[42:43]
	v_pk_mul_f32 v[44:45], v[46:47], s[14:15] op_sel_hi:[1,0]
	v_pk_fma_f32 v[112:113], v[4:5], s[18:19], v[58:59] neg_lo:[0,0,1] neg_hi:[0,0,1]
	v_pk_fma_f32 v[42:43], v[36:37], s[34:35], v[44:45] op_sel:[0,0,1] op_sel_hi:[1,0,0] neg_lo:[0,0,1] neg_hi:[0,0,1]
	v_pk_fma_f32 v[44:45], v[36:37], s[34:35], v[44:45] op_sel:[0,0,1] op_sel_hi:[1,0,0]
	v_mov_b32_e32 v52, v42
	v_mov_b32_e32 v53, v45
	v_pk_add_f32 v[52:53], v[52:53], v[48:49]
	v_pk_mul_f32 v[48:49], v[24:25], s[28:29] op_sel_hi:[1,0]
	s_mov_b32 s18, 0x3eedf032
	v_pk_fma_f32 v[54:55], v[22:23], s[24:25], v[48:49] op_sel:[0,0,1] op_sel_hi:[1,0,0] neg_lo:[0,0,1] neg_hi:[0,0,1]
	v_pk_fma_f32 v[48:49], v[22:23], s[24:25], v[48:49] op_sel:[0,0,1] op_sel_hi:[1,0,0]
	v_mov_b32_e32 v62, v54
	v_mov_b32_e32 v63, v49
	v_pk_add_f32 v[68:69], v[62:63], v[52:53]
	v_pk_mul_f32 v[52:53], v[40:41], s[36:37] op_sel_hi:[1,0]
	v_pk_mul_f32 v[58:59], v[70:71], s[18:19] op_sel_hi:[1,0]
	v_pk_fma_f32 v[62:63], v[34:35], s[26:27], v[52:53] op_sel:[0,0,1] op_sel_hi:[1,0,0] neg_lo:[0,0,1] neg_hi:[0,0,1]
	v_pk_fma_f32 v[52:53], v[34:35], s[26:27], v[52:53] op_sel:[0,0,1] op_sel_hi:[1,0,0]
	v_mov_b32_e32 v72, v62
	v_mov_b32_e32 v73, v53
	v_pk_add_f32 v[72:73], v[72:73], v[68:69]
	v_pk_fma_f32 v[68:69], v[64:65], s[38:39], v[58:59] op_sel:[0,0,1] op_sel_hi:[1,0,0] neg_lo:[0,0,1] neg_hi:[0,0,1]
	v_pk_fma_f32 v[58:59], v[64:65], s[38:39], v[58:59] op_sel:[0,0,1] op_sel_hi:[1,0,0]
	s_mov_b32 s27, s16
	v_mov_b32_e32 v74, v68
	v_mov_b32_e32 v75, v59
	s_mov_b32 s17, s26
	v_pk_mul_f32 v[126:127], v[66:67], s[26:27]
	s_mov_b32 s35, s14
	v_pk_add_f32 v[132:133], v[74:75], v[72:73]
	v_pk_fma_f32 v[76:77], v[4:5], s[16:17], v[126:127] neg_lo:[1,0,0] neg_hi:[1,0,0]
	v_pk_fma_f32 v[110:111], v[4:5], s[16:17], v[126:127]
	s_mov_b32 s15, s34
	v_pk_mul_f32 v[72:73], v[30:31], s[34:35]
	v_mov_b32_e32 v77, v111
	v_pk_fma_f32 v[78:79], v[28:29], s[14:15], v[72:73] op_sel:[1,0,0] op_sel_hi:[0,1,1] neg_lo:[1,0,0] neg_hi:[1,0,0]
	v_pk_fma_f32 v[74:75], v[26:27], s[14:15], v[72:73]
	v_pk_add_f32 v[76:77], v[0:1], v[76:77]
	v_mov_b32_e32 v79, v75
	v_pk_add_f32 v[114:115], v[78:79], v[76:77]
	v_pk_mul_f32 v[78:79], v[46:47], s[40:41] op_sel_hi:[1,0]
	s_mov_b32 s29, s24
	v_pk_fma_f32 v[76:77], v[36:37], s[30:31], v[78:79] op_sel:[0,0,1] op_sel_hi:[1,0,0] neg_lo:[0,0,1] neg_hi:[0,0,1]
	v_pk_fma_f32 v[78:79], v[36:37], s[30:31], v[78:79] op_sel:[0,0,1] op_sel_hi:[1,0,0]
	v_mov_b32_e32 v116, v76
	v_mov_b32_e32 v117, v79
	v_pk_add_f32 v[116:117], v[116:117], v[114:115]
	v_pk_mul_f32 v[114:115], v[24:25], s[18:19] op_sel_hi:[1,0]
	s_mov_b32 s40, 0x3e750f2a
	v_pk_fma_f32 v[118:119], v[22:23], s[38:39], v[114:115] op_sel:[0,0,1] op_sel_hi:[1,0,0] neg_lo:[0,0,1] neg_hi:[0,0,1]
	v_pk_fma_f32 v[114:115], v[22:23], s[38:39], v[114:115] op_sel:[0,0,1] op_sel_hi:[1,0,0]
	v_mov_b32_e32 v120, v118
	;; [unrolled: 7-line block ×4, first 2 shown]
	v_mov_b32_e32 v137, v121
	v_pk_add_f32 v[134:135], v[136:137], v[134:135]
	ds_write2_b64 v202, v[132:133], v[134:135] offset0:2 offset1:3
	v_pk_mul_f32 v[132:133], v[66:67], s[30:31]
	s_mov_b32 s25, s28
	v_pk_fma_f32 v[134:135], v[4:5], s[12:13], v[132:133] neg_lo:[1,0,0] neg_hi:[1,0,0]
	v_pk_fma_f32 v[136:137], v[4:5], s[12:13], v[132:133]
	v_pk_mul_f32 v[138:139], v[30:31], s[24:25]
	v_mov_b32_e32 v135, v137
	v_pk_fma_f32 v[140:141], v[28:29], s[28:29], v[138:139] op_sel:[1,0,0] op_sel_hi:[0,1,1] neg_lo:[1,0,0] neg_hi:[1,0,0]
	v_pk_fma_f32 v[142:143], v[26:27], s[28:29], v[138:139]
	v_pk_add_f32 v[134:135], v[0:1], v[134:135]
	v_mov_b32_e32 v141, v143
	v_pk_add_f32 v[134:135], v[140:141], v[134:135]
	v_pk_mul_f32 v[140:141], v[46:47], s[18:19] op_sel_hi:[1,0]
	s_mov_b32 s25, s20
	v_pk_fma_f32 v[144:145], v[36:37], s[38:39], v[140:141] op_sel:[0,0,1] op_sel_hi:[1,0,0] neg_lo:[0,0,1] neg_hi:[0,0,1]
	v_pk_fma_f32 v[140:141], v[36:37], s[38:39], v[140:141] op_sel:[0,0,1] op_sel_hi:[1,0,0]
	v_mov_b32_e32 v146, v144
	v_mov_b32_e32 v147, v141
	v_pk_add_f32 v[134:135], v[146:147], v[134:135]
	v_pk_mul_f32 v[146:147], v[24:25], s[16:17] op_sel_hi:[1,0]
	v_mov_b32_e32 v141, v145
	v_pk_fma_f32 v[148:149], v[22:23], s[26:27], v[146:147] op_sel:[0,0,1] op_sel_hi:[1,0,0] neg_lo:[0,0,1] neg_hi:[0,0,1]
	v_pk_fma_f32 v[146:147], v[22:23], s[26:27], v[146:147] op_sel:[0,0,1] op_sel_hi:[1,0,0]
	v_mov_b32_e32 v150, v148
	v_mov_b32_e32 v151, v147
	v_pk_add_f32 v[134:135], v[150:151], v[134:135]
	v_pk_mul_f32 v[150:151], v[40:41], s[40:41] op_sel_hi:[1,0]
	s_mov_b32 s27, s36
	v_pk_fma_f32 v[152:153], v[34:35], s[34:35], v[150:151] op_sel:[0,0,1] op_sel_hi:[1,0,0] neg_lo:[0,0,1] neg_hi:[0,0,1]
	v_pk_fma_f32 v[150:151], v[34:35], s[34:35], v[150:151] op_sel:[0,0,1] op_sel_hi:[1,0,0]
	v_mov_b32_e32 v154, v152
	v_mov_b32_e32 v155, v151
	v_pk_add_f32 v[134:135], v[154:155], v[134:135]
	v_pk_mul_f32 v[154:155], v[70:71], s[42:43] op_sel_hi:[1,0]
	v_pk_mul_f32 v[164:165], v[30:31], s[26:27]
	v_pk_fma_f32 v[156:157], v[64:65], s[22:23], v[154:155] op_sel:[0,0,1] op_sel_hi:[1,0,0] neg_lo:[0,0,1] neg_hi:[0,0,1]
	v_pk_fma_f32 v[154:155], v[64:65], s[22:23], v[154:155] op_sel:[0,0,1] op_sel_hi:[1,0,0]
	v_mov_b32_e32 v158, v156
	v_mov_b32_e32 v159, v155
	v_pk_add_f32 v[134:135], v[158:159], v[134:135]
	v_pk_mul_f32 v[158:159], v[66:67], s[24:25]
	v_pk_fma_f32 v[166:167], v[28:29], s[36:37], v[164:165] op_sel:[1,0,0] op_sel_hi:[0,1,1] neg_lo:[1,0,0] neg_hi:[1,0,0]
	v_pk_fma_f32 v[160:161], v[4:5], s[20:21], v[158:159] neg_lo:[1,0,0] neg_hi:[1,0,0]
	v_pk_fma_f32 v[162:163], v[4:5], s[20:21], v[158:159]
	v_pk_fma_f32 v[168:169], v[26:27], s[36:37], v[164:165]
	v_mov_b32_e32 v161, v163
	v_mov_b32_e32 v167, v169
	v_pk_add_f32 v[160:161], v[0:1], v[160:161]
	v_mov_b32_e32 v147, v149
	v_pk_add_f32 v[160:161], v[166:167], v[160:161]
	v_pk_mul_f32 v[166:167], v[46:47], s[2:3] op_sel_hi:[1,0]
	v_pk_mul_f32 v[46:47], v[46:47], s[20:21] op_sel_hi:[1,0]
	v_pk_fma_f32 v[170:171], v[36:37], s[22:23], v[166:167] op_sel:[0,0,1] op_sel_hi:[1,0,0] neg_lo:[0,0,1] neg_hi:[0,0,1]
	v_pk_fma_f32 v[166:167], v[36:37], s[22:23], v[166:167] op_sel:[0,0,1] op_sel_hi:[1,0,0]
	v_mov_b32_e32 v172, v170
	v_mov_b32_e32 v173, v167
	v_pk_add_f32 v[160:161], v[172:173], v[160:161]
	v_pk_mul_f32 v[172:173], v[24:25], s[40:41] op_sel_hi:[1,0]
	v_pk_mul_f32 v[24:25], v[24:25], s[42:43] op_sel_hi:[1,0]
	v_pk_fma_f32 v[174:175], v[22:23], s[34:35], v[172:173] op_sel:[0,0,1] op_sel_hi:[1,0,0] neg_lo:[0,0,1] neg_hi:[0,0,1]
	v_pk_fma_f32 v[172:173], v[22:23], s[34:35], v[172:173] op_sel:[0,0,1] op_sel_hi:[1,0,0]
	v_mov_b32_e32 v176, v174
	v_mov_b32_e32 v177, v173
	v_pk_add_f32 v[160:161], v[176:177], v[160:161]
	v_pk_mul_f32 v[176:177], v[40:41], s[18:19] op_sel_hi:[1,0]
	v_mov_b32_e32 v167, v171
	v_pk_fma_f32 v[178:179], v[34:35], s[38:39], v[176:177] op_sel:[0,0,1] op_sel_hi:[1,0,0] neg_lo:[0,0,1] neg_hi:[0,0,1]
	v_pk_fma_f32 v[176:177], v[34:35], s[38:39], v[176:177] op_sel:[0,0,1] op_sel_hi:[1,0,0]
	v_mov_b32_e32 v180, v178
	v_mov_b32_e32 v181, v177
	v_pk_add_f32 v[160:161], v[180:181], v[160:161]
	v_pk_mul_f32 v[180:181], v[70:71], s[12:13] op_sel_hi:[1,0]
	v_mov_b32_e32 v173, v175
	v_pk_fma_f32 v[182:183], v[64:65], s[30:31], v[180:181] op_sel:[0,0,1] op_sel_hi:[1,0,0] neg_lo:[0,0,1] neg_hi:[0,0,1]
	v_pk_fma_f32 v[180:181], v[64:65], s[30:31], v[180:181] op_sel:[0,0,1] op_sel_hi:[1,0,0]
	v_mov_b32_e32 v184, v182
	v_mov_b32_e32 v185, v181
	v_pk_add_f32 v[160:161], v[184:185], v[160:161]
	ds_write2_b64 v202, v[134:135], v[160:161] offset0:4 offset1:5
	v_pk_fma_f32 v[134:135], v[22:23], s[22:23], v[24:25] op_sel:[0,0,1] op_sel_hi:[1,0,0] neg_lo:[0,0,1] neg_hi:[0,0,1]
	v_pk_fma_f32 v[22:23], v[22:23], s[22:23], v[24:25] op_sel:[0,0,1] op_sel_hi:[1,0,0]
	v_pk_mul_f32 v[24:25], v[40:41], s[12:13] op_sel_hi:[1,0]
	s_mov_b32 s22, s19
	v_pk_fma_f32 v[40:41], v[34:35], s[30:31], v[24:25] op_sel:[0,0,1] op_sel_hi:[1,0,0] neg_lo:[0,0,1] neg_hi:[0,0,1]
	v_pk_fma_f32 v[24:25], v[34:35], s[30:31], v[24:25] op_sel:[0,0,1] op_sel_hi:[1,0,0]
	v_pk_mul_f32 v[34:35], v[70:71], s[36:37] op_sel_hi:[1,0]
	s_mov_b32 s23, s18
	v_pk_fma_f32 v[70:71], v[64:65], s[26:27], v[34:35] op_sel:[0,0,1] op_sel_hi:[1,0,0] neg_lo:[0,0,1] neg_hi:[0,0,1]
	v_pk_fma_f32 v[34:35], v[64:65], s[26:27], v[34:35] op_sel:[0,0,1] op_sel_hi:[1,0,0]
	v_pk_mul_f32 v[64:65], v[66:67], s[34:35]
	v_pk_mul_f32 v[30:31], v[30:31], s[22:23]
	v_pk_fma_f32 v[66:67], v[4:5], s[14:15], v[64:65] neg_lo:[1,0,0] neg_hi:[1,0,0]
	v_pk_fma_f32 v[160:161], v[4:5], s[14:15], v[64:65]
	v_pk_fma_f32 v[28:29], v[28:29], s[18:19], v[30:31] op_sel:[1,0,0] op_sel_hi:[0,1,1] neg_lo:[1,0,0] neg_hi:[1,0,0]
	v_mov_b32_e32 v67, v161
	v_pk_fma_f32 v[184:185], v[26:27], s[18:19], v[30:31]
	v_pk_add_f32 v[66:67], v[0:1], v[66:67]
	v_mov_b32_e32 v29, v185
	v_pk_add_f32 v[28:29], v[28:29], v[66:67]
	v_pk_fma_f32 v[66:67], v[36:37], s[24:25], v[46:47] op_sel:[0,0,1] op_sel_hi:[1,0,0] neg_lo:[0,0,1] neg_hi:[0,0,1]
	v_pk_fma_f32 v[36:37], v[36:37], s[24:25], v[46:47] op_sel:[0,0,1] op_sel_hi:[1,0,0]
	v_mov_b32_e32 v46, v66
	v_mov_b32_e32 v47, v37
	v_pk_add_f32 v[28:29], v[46:47], v[28:29]
	v_mov_b32_e32 v46, v134
	v_mov_b32_e32 v47, v23
	v_pk_add_f32 v[28:29], v[46:47], v[28:29]
	v_mov_b32_e32 v46, v40
	v_mov_b32_e32 v47, v25
	v_mov_b32_e32 v25, v41
	v_pk_fma_f32 v[40:41], v[4:5], s[14:15], v[64:65] neg_lo:[0,0,1] neg_hi:[0,0,1]
	v_pk_fma_f32 v[30:31], v[26:27], s[18:19], v[30:31] neg_lo:[0,0,1] neg_hi:[0,0,1]
	v_mov_b32_e32 v161, v41
	v_mov_b32_e32 v185, v31
	v_pk_add_f32 v[30:31], v[0:1], v[160:161]
	v_mov_b32_e32 v37, v67
	v_pk_add_f32 v[30:31], v[184:185], v[30:31]
	;; [unrolled: 2-line block ×3, first 2 shown]
	v_pk_add_f32 v[28:29], v[46:47], v[28:29]
	v_pk_add_f32 v[22:23], v[22:23], v[30:31]
	v_mov_b32_e32 v46, v70
	v_mov_b32_e32 v47, v35
	;; [unrolled: 1-line block ×3, first 2 shown]
	v_pk_add_f32 v[22:23], v[24:25], v[22:23]
	v_pk_add_f32 v[28:29], v[46:47], v[28:29]
	;; [unrolled: 1-line block ×3, first 2 shown]
	ds_write2_b64 v202, v[28:29], v[22:23] offset0:6 offset1:7
	v_pk_fma_f32 v[22:23], v[4:5], s[20:21], v[158:159] neg_lo:[0,0,1] neg_hi:[0,0,1]
	v_pk_fma_f32 v[24:25], v[4:5], s[12:13], v[132:133] neg_lo:[0,0,1] neg_hi:[0,0,1]
	v_mov_b32_e32 v163, v23
	v_pk_fma_f32 v[22:23], v[26:27], s[36:37], v[164:165] neg_lo:[0,0,1] neg_hi:[0,0,1]
	v_mov_b32_e32 v137, v25
	;; [unrolled: 2-line block ×3, first 2 shown]
	v_pk_add_f32 v[22:23], v[0:1], v[162:163]
	v_mov_b32_e32 v143, v25
	v_pk_add_f32 v[24:25], v[0:1], v[136:137]
	v_pk_add_f32 v[22:23], v[168:169], v[22:23]
	;; [unrolled: 1-line block ×5, first 2 shown]
	v_mov_b32_e32 v177, v179
	v_pk_add_f32 v[22:23], v[172:173], v[22:23]
	v_mov_b32_e32 v151, v153
	v_pk_add_f32 v[24:25], v[146:147], v[24:25]
	;; [unrolled: 2-line block ×4, first 2 shown]
	v_pk_add_f32 v[22:23], v[180:181], v[22:23]
	v_pk_add_f32 v[24:25], v[154:155], v[24:25]
	ds_write2_b64 v202, v[22:23], v[24:25] offset0:8 offset1:9
	v_mov_b32_e32 v9, v113
	v_pk_fma_f32 v[22:23], v[4:5], s[16:17], v[126:127] neg_lo:[0,0,1] neg_hi:[0,0,1]
	v_pk_fma_f32 v[4:5], v[4:5], s[2:3], v[56:57] neg_lo:[0,0,1] neg_hi:[0,0,1]
	v_mov_b32_e32 v6, v2
	v_mov_b32_e32 v51, v5
	v_pk_add_f32 v[4:5], v[0:1], v[8:9]
	v_mov_b32_e32 v2, v10
	v_pk_add_f32 v[4:5], v[6:7], v[4:5]
	v_mov_b32_e32 v111, v23
	v_pk_add_f32 v[2:3], v[2:3], v[4:5]
	v_pk_fma_f32 v[4:5], v[26:27], s[14:15], v[72:73] neg_lo:[0,0,1] neg_hi:[0,0,1]
	v_pk_fma_f32 v[6:7], v[26:27], s[12:13], v[38:39] neg_lo:[0,0,1] neg_hi:[0,0,1]
	v_pk_add_f32 v[8:9], v[0:1], v[110:111]
	v_pk_add_f32 v[0:1], v[0:1], v[50:51]
	v_mov_b32_e32 v75, v5
	v_mov_b32_e32 v33, v7
	v_pk_add_f32 v[4:5], v[74:75], v[8:9]
	v_mov_b32_e32 v79, v77
	v_pk_add_f32 v[0:1], v[32:33], v[0:1]
	v_mov_b32_e32 v45, v43
	v_mov_b32_e32 v115, v119
	v_pk_add_f32 v[4:5], v[78:79], v[4:5]
	v_mov_b32_e32 v49, v55
	v_pk_add_f32 v[0:1], v[44:45], v[0:1]
	v_mov_b32_e32 v14, v12
	v_mov_b32_e32 v117, v123
	v_pk_add_f32 v[4:5], v[114:115], v[4:5]
	v_mov_b32_e32 v53, v63
	v_pk_add_f32 v[0:1], v[48:49], v[0:1]
	v_mov_b32_e32 v16, v18
	v_pk_add_f32 v[2:3], v[14:15], v[2:3]
	v_mov_b32_e32 v121, v125
	;; [unrolled: 2-line block ×4, first 2 shown]
	v_pk_add_f32 v[2:3], v[16:17], v[2:3]
	v_pk_add_f32 v[4:5], v[120:121], v[4:5]
	;; [unrolled: 1-line block ×4, first 2 shown]
	ds_write2_b64 v202, v[4:5], v[0:1] offset0:10 offset1:11
	ds_write_b64 v202, v[8:9] offset:96
	s_waitcnt lgkmcnt(0)
	s_barrier
	ds_read2_b64 v[28:31], v81 offset1:78
	ds_read2_b64 v[44:47], v128 offset0:82 offset1:160
	ds_read2_b64 v[36:39], v129 offset0:123 offset1:201
	ds_read2_b64 v[32:35], v130 offset0:164 offset1:242
	ds_read2_b64 v[48:51], v81 offset0:169 offset1:247
	ds_read2_b64 v[40:43], v61 offset0:77 offset1:155
	s_load_dwordx2 s[12:13], s[0:1], 0x38
	v_cmp_lt_u16_e64 s[0:1], 12, v84
	v_cmp_gt_u16_e32 vcc, 13, v84
                                        ; implicit-def: $vgpr64
                                        ; implicit-def: $vgpr62
                                        ; implicit-def: $vgpr52
                                        ; implicit-def: $vgpr56
	s_and_saveexec_b64 s[2:3], vcc
	s_cbranch_execz .LBB0_3
; %bb.2:
	v_add_u32_e32 v1, 0xe00, v81
	v_add_u32_e32 v0, 0x400, v81
	ds_read2_b64 v[52:55], v1 offset0:46 offset1:215
	ds_read2_b64 v[56:59], v61 offset0:64 offset1:233
	;; [unrolled: 1-line block ×3, first 2 shown]
	s_waitcnt lgkmcnt(0)
	v_mov_b32_e32 v64, v53
	v_mov_b32_e32 v62, v57
.LBB0_3:
	s_or_b64 exec, exec, s[2:3]
	s_movk_i32 s16, 0x4f
	v_add_u16_e32 v0, 0x9c, v84
	v_mul_lo_u16_sdwa v1, v0, s16 dst_sel:DWORD dst_unused:UNUSED_PAD src0_sel:BYTE_0 src1_sel:DWORD
	v_lshrrev_b16_e32 v1, 10, v1
	v_mul_lo_u16_e32 v1, 13, v1
	v_sub_u16_e32 v0, v0, v1
	v_accvgpr_write_b32 a7, v0
	v_and_b32_e32 v0, 0xff, v0
	v_mad_u64_u32 v[12:13], s[2:3], v0, 40, s[10:11]
	global_load_dwordx4 v[0:3], v[12:13], off
	global_load_dwordx4 v[4:7], v[12:13], off offset:16
	global_load_dwordx2 v[110:111], v[12:13], off offset:32
	v_add_u16_e32 v12, 0x4e, v84
	v_mul_lo_u16_sdwa v13, v84, s16 dst_sel:DWORD dst_unused:UNUSED_PAD src0_sel:BYTE_0 src1_sel:DWORD
	v_mul_lo_u16_sdwa v14, v12, s16 dst_sel:DWORD dst_unused:UNUSED_PAD src0_sel:BYTE_0 src1_sel:DWORD
	v_lshrrev_b16_e32 v61, 10, v13
	v_lshrrev_b16_e32 v80, 10, v14
	v_mul_lo_u16_e32 v13, 13, v61
	v_mul_lo_u16_e32 v14, 13, v80
	v_sub_u16_e32 v13, v84, v13
	v_sub_u16_e32 v12, v12, v14
	v_and_b32_e32 v82, 0xff, v13
	v_and_b32_e32 v83, 0xff, v12
	v_mad_u64_u32 v[72:73], s[16:17], v82, 40, s[10:11]
	v_mad_u64_u32 v[74:75], s[16:17], v83, 40, s[10:11]
	global_load_dwordx4 v[16:19], v[72:73], off offset:16
	global_load_dwordx4 v[24:27], v[72:73], off
	global_load_dwordx2 v[116:117], v[74:75], off offset:32
	global_load_dwordx4 v[12:15], v[74:75], off offset:16
	global_load_dwordx2 v[118:119], v[72:73], off offset:32
	global_load_dwordx4 v[20:23], v[74:75], off
	v_mov_b32_e32 v66, v11
	v_mov_b32_e32 v68, v55
	v_mov_b32_e32 v70, v59
	s_mov_b32 s2, 0x3f5db3d7
	s_mov_b32 s14, -0.5
	s_mov_b32 s15, 0xbf5db3d7
	s_waitcnt lgkmcnt(0)
	s_barrier
	s_waitcnt vmcnt(8)
	v_pk_mul_f32 v[72:73], v[10:11], v[0:1]
	s_waitcnt vmcnt(7)
	v_pk_mul_f32 v[74:75], v[54:55], v[4:5]
	s_waitcnt vmcnt(6)
	v_pk_mul_f32 v[76:77], v[58:59], v[110:111]
	v_mov_b32_e32 v74, v5
	v_mov_b32_e32 v76, v111
	;; [unrolled: 1-line block ×3, first 2 shown]
	v_pk_mul_f32 v[64:65], v[64:65], v[2:3] op_sel_hi:[0,1]
	v_pk_mul_f32 v[62:63], v[62:63], v[6:7] op_sel_hi:[0,1]
	v_mov_b32_e32 v112, v75
	v_pk_mul_f32 v[74:75], v[54:55], v[74:75]
	v_mov_b32_e32 v114, v77
	v_pk_mul_f32 v[76:77], v[58:59], v[76:77]
	v_pk_mul_f32 v[66:67], v[66:67], v[0:1]
	v_mov_b32_e32 v78, v73
	v_pk_mul_f32 v[72:73], v[10:11], v[72:73]
	v_pk_fma_f32 v[120:121], v[52:53], v[2:3], v[64:65] op_sel:[0,0,1] op_sel_hi:[0,1,0]
	v_pk_fma_f32 v[52:53], v[52:53], v[2:3], v[64:65] op_sel:[0,0,1] op_sel_hi:[0,1,0] neg_lo:[0,0,1] neg_hi:[0,0,1]
	v_pk_fma_f32 v[64:65], v[56:57], v[6:7], v[62:63] op_sel:[0,0,1] op_sel_hi:[0,1,0]
	v_pk_fma_f32 v[56:57], v[56:57], v[6:7], v[62:63] op_sel:[0,0,1] op_sel_hi:[0,1,0] neg_lo:[0,0,1] neg_hi:[0,0,1]
	v_pk_fma_f32 v[62:63], v[68:69], v[4:5], v[74:75] op_sel_hi:[0,1,1]
	v_pk_fma_f32 v[68:69], v[70:71], v[110:111], v[76:77] op_sel_hi:[0,1,1]
	v_pk_fma_f32 v[10:11], v[10:11], v[0:1], v[78:79] neg_lo:[0,0,1] neg_hi:[0,0,1]
	v_pk_fma_f32 v[54:55], v[54:55], v[4:5], v[112:113] neg_lo:[0,0,1] neg_hi:[0,0,1]
	v_pk_fma_f32 v[58:59], v[58:59], v[110:111], v[114:115] neg_lo:[0,0,1] neg_hi:[0,0,1]
	v_mov_b32_e32 v67, v62
	v_mov_b32_e32 v73, v68
	;; [unrolled: 1-line block ×4, first 2 shown]
	v_pk_add_f32 v[74:75], v[10:11], v[54:55]
	v_add_f32_e32 v11, v54, v58
	v_sub_f32_e32 v64, v62, v68
	v_sub_f32_e32 v69, v54, v58
	v_pk_add_f32 v[66:67], v[66:67], v[72:73]
	v_mov_b32_e32 v71, v56
	v_pk_add_f32 v[76:77], v[8:9], v[52:53]
	v_pk_add_f32 v[54:55], v[52:53], v[56:57]
	v_pk_add_f32 v[56:57], v[52:53], v[56:57] neg_lo:[0,1] neg_hi:[0,1]
	v_pk_add_f32 v[52:53], v[74:75], v[58:59]
	v_fmac_f32_e32 v10, -0.5, v11
	v_mul_f32_e32 v58, 0x3f5db3d7, v64
	v_mul_f32_e32 v64, 0x3f5db3d7, v69
	v_pk_add_f32 v[62:63], v[66:67], v[62:63]
	v_fmac_f32_e32 v66, -0.5, v67
	v_pk_add_f32 v[74:75], v[10:11], v[58:59] op_sel_hi:[0,0]
	v_pk_add_f32 v[78:79], v[10:11], v[58:59] op_sel_hi:[0,0] neg_lo:[0,1] neg_hi:[0,1]
	v_pk_add_f32 v[10:11], v[66:67], v[64:65] op_sel_hi:[0,0] neg_lo:[0,1] neg_hi:[0,1]
	v_pk_add_f32 v[58:59], v[66:67], v[64:65] op_sel_hi:[0,0]
	v_mov_b32_e32 v10, v65
	s_waitcnt vmcnt(4)
	v_pk_mul_f32 v[64:65], v[48:49], v[24:25] op_sel:[0,1]
	v_pk_fma_f32 v[8:9], v[54:55], 0.5, v[8:9] op_sel_hi:[1,0,1] neg_lo:[1,0,0] neg_hi:[1,0,0]
	v_pk_fma_f32 v[66:67], v[48:49], v[24:25], v[64:65] op_sel:[0,0,1] op_sel_hi:[1,1,0] neg_lo:[0,0,1] neg_hi:[0,0,1]
	v_pk_fma_f32 v[48:49], v[48:49], v[24:25], v[64:65] op_sel:[0,0,1] op_sel_hi:[1,0,0]
	v_pk_mul_f32 v[56:57], v[56:57], s[2:3] op_sel_hi:[1,0]
	v_mov_b32_e32 v48, v27
	v_mov_b32_e32 v67, v49
	v_pk_mul_f32 v[48:49], v[44:45], v[48:49] op_sel_hi:[1,0]
	v_mov_b32_e32 v55, v76
	v_pk_fma_f32 v[64:65], v[44:45], v[26:27], v[48:49] op_sel:[0,0,1] op_sel_hi:[1,1,0] neg_lo:[0,0,1] neg_hi:[0,0,1]
	v_pk_fma_f32 v[44:45], v[44:45], v[26:27], v[48:49] op_sel:[0,0,1] op_sel_hi:[1,0,0]
	v_mov_b32_e32 v54, v56
	v_mov_b32_e32 v65, v45
	v_pk_mul_f32 v[44:45], v[36:37], v[16:17] op_sel:[0,1]
	v_mov_b32_e32 v70, v9
	v_pk_fma_f32 v[48:49], v[36:37], v[16:17], v[44:45] op_sel:[0,0,1] op_sel_hi:[1,1,0] neg_lo:[0,0,1] neg_hi:[0,0,1]
	v_pk_fma_f32 v[36:37], v[36:37], v[16:17], v[44:45] op_sel:[0,0,1] op_sel_hi:[1,0,0]
	v_mov_b32_e32 v79, v75
	v_mov_b32_e32 v36, v19
	;; [unrolled: 1-line block ×3, first 2 shown]
	v_pk_mul_f32 v[36:37], v[32:33], v[36:37] op_sel_hi:[1,0]
	v_pk_add_f32 v[72:73], v[8:9], v[56:57] op_sel:[0,1] op_sel_hi:[1,0] neg_lo:[0,1] neg_hi:[0,1]
	v_pk_fma_f32 v[44:45], v[32:33], v[18:19], v[36:37] op_sel:[0,0,1] op_sel_hi:[1,1,0] neg_lo:[0,0,1] neg_hi:[0,0,1]
	v_pk_fma_f32 v[32:33], v[32:33], v[18:19], v[36:37] op_sel:[0,0,1] op_sel_hi:[1,0,0]
	v_pk_add_f32 v[54:55], v[54:55], v[70:71]
	v_mov_b32_e32 v45, v33
	s_waitcnt vmcnt(1)
	v_pk_mul_f32 v[32:33], v[40:41], v[118:119] op_sel:[0,1]
	v_mov_b32_e32 v59, v11
	v_pk_fma_f32 v[36:37], v[40:41], v[118:119], v[32:33] op_sel:[0,0,1] op_sel_hi:[1,1,0] neg_lo:[0,0,1] neg_hi:[0,0,1]
	v_pk_fma_f32 v[32:33], v[40:41], v[118:119], v[32:33] op_sel:[0,0,1] op_sel_hi:[1,0,0]
	s_mov_b32 s3, 0.5
	v_mul_f32_e32 v69, 0x3f5db3d7, v11
	v_mov_b32_e32 v11, v8
	v_pk_mul_f32 v[8:9], v[78:79], s[14:15]
	v_mov_b32_e32 v37, v33
	v_pk_add_f32 v[70:71], v[64:65], v[44:45]
	v_pk_fma_f32 v[8:9], v[58:59], s[2:3], v[8:9]
	v_mul_f32_e32 v58, -0.5, v58
	v_pk_add_f32 v[32:33], v[28:29], v[64:65]
	v_pk_add_f32 v[40:41], v[66:67], v[48:49]
	v_pk_fma_f32 v[28:29], v[70:71], 0.5, v[28:29] op_sel_hi:[1,0,1] neg_lo:[1,0,0] neg_hi:[1,0,0]
	v_pk_add_f32 v[70:71], v[48:49], v[36:37]
	v_mul_f32_e32 v63, 0.5, v75
	v_mov_b32_e32 v56, v77
	v_fmac_f32_e32 v58, 0xbf5db3d7, v78
	v_mov_b32_e32 v59, v52
	v_mul_u32_u24_e32 v53, 0x4e, v61
	v_pk_add_f32 v[32:33], v[32:33], v[44:45]
	v_pk_add_f32 v[40:41], v[40:41], v[36:37]
	v_pk_add_f32 v[44:45], v[64:65], v[44:45] neg_lo:[0,1] neg_hi:[0,1]
	v_pk_fma_f32 v[66:67], v[70:71], 0.5, v[66:67] op_sel_hi:[1,0,1] neg_lo:[1,0,0] neg_hi:[1,0,0]
	v_pk_add_f32 v[36:37], v[48:49], v[36:37] neg_lo:[0,1] neg_hi:[0,1]
	v_pk_add_f32 v[10:11], v[56:57], v[10:11]
	v_pk_add_f32 v[56:57], v[62:63], v[68:69]
	;; [unrolled: 1-line block ×3, first 2 shown]
	v_pk_add_f32 v[62:63], v[54:55], v[58:59] neg_lo:[0,1] neg_hi:[0,1]
	v_add_u32_e32 v53, v53, v82
	v_accvgpr_read_b32 v59, a1
	v_pk_mul_f32 v[44:45], v[44:45], s[2:3] op_sel_hi:[1,0]
	v_pk_fma_f32 v[48:49], v[36:37], s[2:3], v[66:67] op_sel:[0,0,1] op_sel_hi:[1,0,0]
	v_pk_fma_f32 v[36:37], v[36:37], s[2:3], v[66:67] op_sel:[0,0,1] op_sel_hi:[1,0,0] neg_lo:[1,0,0] neg_hi:[1,0,0]
	v_lshl_add_u32 v203, v53, 3, v59
	v_pk_add_f32 v[64:65], v[44:45], v[28:29] op_sel:[1,0] op_sel_hi:[0,1]
	v_pk_add_f32 v[28:29], v[28:29], v[44:45] op_sel:[0,1] op_sel_hi:[1,0] neg_lo:[0,1] neg_hi:[0,1]
	v_mov_b32_e32 v66, v48
	v_mov_b32_e32 v67, v37
	v_mul_f32_e32 v53, 0xbf5db3d7, v49
	v_mov_b32_e32 v44, v28
	v_mul_f32_e32 v28, 0x3f5db3d7, v36
	v_fmac_f32_e32 v53, 0.5, v36
	s_mov_b32 s3, s15
	v_pk_mul_f32 v[36:37], v[66:67], 0.5 op_sel_hi:[1,0]
	v_mov_b32_e32 v45, v65
	v_pk_fma_f32 v[36:37], v[66:67], s[2:3], v[36:37] op_sel:[0,0,1] op_sel_hi:[1,1,0] neg_lo:[0,0,1] neg_hi:[0,0,1]
	v_pk_add_f32 v[68:69], v[32:33], v[40:41]
	v_fmac_f32_e32 v28, 0.5, v49
	v_pk_add_f32 v[66:67], v[44:45], v[36:37]
	v_pk_add_f32 v[32:33], v[32:33], v[40:41] neg_lo:[0,1] neg_hi:[0,1]
	v_add_f32_e32 v48, v64, v28
	v_add_f32_e32 v49, v29, v53
	v_sub_f32_e32 v28, v64, v28
	v_sub_f32_e32 v29, v29, v53
	ds_write2_b64 v203, v[66:67], v[32:33] offset0:26 offset1:39
	v_pk_add_f32 v[32:33], v[44:45], v[36:37] neg_lo:[0,1] neg_hi:[0,1]
	ds_write2_b64 v203, v[28:29], v[32:33] offset0:52 offset1:65
	v_mul_u32_u24_e32 v28, 0x4e, v80
	v_add_u32_e32 v28, v28, v83
	v_lshl_add_u32 v80, v28, 3, v59
	s_waitcnt vmcnt(0)
	v_pk_mul_f32 v[28:29], v[50:51], v[20:21] op_sel:[0,1]
	v_pk_add_f32 v[112:113], v[72:73], v[8:9]
	v_pk_fma_f32 v[32:33], v[50:51], v[20:21], v[28:29] op_sel:[0,0,1] op_sel_hi:[1,1,0] neg_lo:[0,0,1] neg_hi:[0,0,1]
	v_pk_fma_f32 v[28:29], v[50:51], v[20:21], v[28:29] op_sel:[0,0,1] op_sel_hi:[1,0,0]
	v_pk_add_f32 v[8:9], v[72:73], v[8:9] neg_lo:[0,1] neg_hi:[0,1]
	v_mov_b32_e32 v28, v23
	v_mov_b32_e32 v33, v29
	v_pk_mul_f32 v[28:29], v[46:47], v[28:29] op_sel_hi:[1,0]
	ds_write2_b64 v203, v[68:69], v[48:49] offset1:13
	v_pk_fma_f32 v[36:37], v[46:47], v[22:23], v[28:29] op_sel:[0,0,1] op_sel_hi:[1,1,0] neg_lo:[0,0,1] neg_hi:[0,0,1]
	v_pk_fma_f32 v[28:29], v[46:47], v[22:23], v[28:29] op_sel:[0,0,1] op_sel_hi:[1,0,0]
	s_nop 0
	v_mov_b32_e32 v37, v29
	v_pk_mul_f32 v[28:29], v[38:39], v[12:13] op_sel:[0,1]
	s_nop 0
	v_pk_fma_f32 v[40:41], v[38:39], v[12:13], v[28:29] op_sel:[0,0,1] op_sel_hi:[1,1,0] neg_lo:[0,0,1] neg_hi:[0,0,1]
	v_pk_fma_f32 v[28:29], v[38:39], v[12:13], v[28:29] op_sel:[0,0,1] op_sel_hi:[1,0,0]
	s_nop 0
	v_mov_b32_e32 v28, v15
	v_mov_b32_e32 v41, v29
	v_pk_mul_f32 v[28:29], v[34:35], v[28:29] op_sel_hi:[1,0]
	s_nop 0
	v_pk_fma_f32 v[38:39], v[34:35], v[14:15], v[28:29] op_sel:[0,0,1] op_sel_hi:[1,1,0] neg_lo:[0,0,1] neg_hi:[0,0,1]
	v_pk_fma_f32 v[28:29], v[34:35], v[14:15], v[28:29] op_sel:[0,0,1] op_sel_hi:[1,0,0]
	s_nop 0
	v_mov_b32_e32 v39, v29
	v_pk_mul_f32 v[28:29], v[42:43], v[116:117] op_sel:[0,1]
	v_pk_add_f32 v[46:47], v[36:37], v[38:39]
	v_pk_fma_f32 v[34:35], v[42:43], v[116:117], v[28:29] op_sel:[0,0,1] op_sel_hi:[1,1,0] neg_lo:[0,0,1] neg_hi:[0,0,1]
	v_pk_fma_f32 v[28:29], v[42:43], v[116:117], v[28:29] op_sel:[0,0,1] op_sel_hi:[1,0,0]
	v_pk_add_f32 v[42:43], v[32:33], v[40:41]
	v_mov_b32_e32 v35, v29
	v_pk_add_f32 v[28:29], v[30:31], v[36:37]
	v_pk_fma_f32 v[30:31], v[46:47], 0.5, v[30:31] op_sel_hi:[1,0,1] neg_lo:[1,0,0] neg_hi:[1,0,0]
	v_pk_add_f32 v[36:37], v[36:37], v[38:39] neg_lo:[0,1] neg_hi:[0,1]
	v_pk_add_f32 v[46:47], v[40:41], v[34:35]
	v_pk_add_f32 v[42:43], v[42:43], v[34:35]
	v_pk_mul_f32 v[36:37], v[36:37], s[2:3] op_sel_hi:[1,0]
	v_pk_fma_f32 v[32:33], v[46:47], 0.5, v[32:33] op_sel_hi:[1,0,1] neg_lo:[1,0,0] neg_hi:[1,0,0]
	v_pk_add_f32 v[34:35], v[40:41], v[34:35] neg_lo:[0,1] neg_hi:[0,1]
	v_pk_add_f32 v[28:29], v[28:29], v[38:39]
	v_pk_add_f32 v[38:39], v[36:37], v[30:31] op_sel:[1,0] op_sel_hi:[0,1]
	v_pk_fma_f32 v[40:41], v[34:35], s[2:3], v[32:33] op_sel:[0,0,1] op_sel_hi:[1,0,0]
	v_pk_fma_f32 v[32:33], v[34:35], s[2:3], v[32:33] op_sel:[0,0,1] op_sel_hi:[1,0,0] neg_lo:[1,0,0] neg_hi:[1,0,0]
	v_pk_add_f32 v[30:31], v[30:31], v[36:37] op_sel:[0,1] op_sel_hi:[1,0] neg_lo:[0,1] neg_hi:[0,1]
	v_mov_b32_e32 v37, v39
	v_mov_b32_e32 v34, v40
	;; [unrolled: 1-line block ×3, first 2 shown]
	v_mul_f32_e32 v39, 0xbf5db3d7, v41
	v_mov_b32_e32 v36, v30
	v_mul_f32_e32 v30, 0x3f5db3d7, v32
	v_fmac_f32_e32 v39, 0.5, v32
	v_pk_mul_f32 v[32:33], v[34:35], 0.5 op_sel_hi:[1,0]
	v_pk_add_f32 v[44:45], v[28:29], v[42:43]
	v_pk_fma_f32 v[32:33], v[34:35], s[2:3], v[32:33] op_sel:[0,0,1] op_sel_hi:[1,1,0] neg_lo:[0,0,1] neg_hi:[0,0,1]
	v_fmac_f32_e32 v30, 0.5, v41
	v_pk_add_f32 v[34:35], v[36:37], v[32:33]
	v_pk_add_f32 v[28:29], v[28:29], v[42:43] neg_lo:[0,1] neg_hi:[0,1]
	v_add_f32_e32 v40, v38, v30
	v_add_f32_e32 v41, v31, v39
	v_sub_f32_e32 v30, v38, v30
	v_sub_f32_e32 v31, v31, v39
	ds_write2_b64 v80, v[34:35], v[28:29] offset0:26 offset1:39
	v_pk_add_f32 v[28:29], v[36:37], v[32:33] neg_lo:[0,1] neg_hi:[0,1]
	ds_write2_b64 v80, v[44:45], v[40:41] offset1:13
	ds_write2_b64 v80, v[30:31], v[28:29] offset0:52 offset1:65
	s_and_saveexec_b64 s[2:3], s[0:1]
	s_xor_b64 s[2:3], exec, s[2:3]
; %bb.4:
                                        ; implicit-def: $vgpr52_vgpr53
; %bb.5:
	s_or_saveexec_b64 s[2:3], s[2:3]
	v_add_f32_e32 v42, v11, v57
	v_mov_b32_e32 v115, v63
	v_pk_add_f32 v[120:121], v[10:11], v[56:57] neg_lo:[0,1] neg_hi:[0,1]
	v_sub_f32_e32 v11, v54, v58
	s_xor_b64 exec, exec, s[2:3]
	s_cbranch_execz .LBB0_7
; %bb.6:
	v_accvgpr_read_b32 v28, a7
	v_and_b32_e32 v28, 0xff, v28
	v_accvgpr_read_b32 v29, a1
	v_lshl_add_u32 v30, v28, 3, v29
	v_mov_b32_e32 v28, v55
	v_mov_b32_e32 v29, v10
	;; [unrolled: 1-line block ×3, first 2 shown]
	v_pk_add_f32 v[28:29], v[28:29], v[52:53]
	v_mov_b32_e32 v43, v113
	v_add_u32_e32 v32, 0x1800, v30
	ds_write2_b64 v32, v[28:29], v[42:43] offset0:168 offset1:181
	v_mov_b32_e32 v28, v112
	v_mov_b32_e32 v29, v114
	;; [unrolled: 1-line block ×4, first 2 shown]
	ds_write2_b64 v32, v[28:29], v[30:31] offset0:194 offset1:207
	v_mov_b32_e32 v28, v121
	v_mov_b32_e32 v29, v9
	;; [unrolled: 1-line block ×3, first 2 shown]
	ds_write2_b64 v32, v[28:29], v[10:11] offset0:220 offset1:233
.LBB0_7:
	s_or_b64 exec, exec, s[2:3]
	s_movk_i32 s2, 0x60
	v_mov_b64_e32 v[28:29], s[10:11]
	v_mad_u64_u32 v[40:41], s[2:3], v84, s2, v[28:29]
	s_waitcnt lgkmcnt(0)
	s_barrier
	global_load_dwordx4 v[32:35], v[40:41], off offset:520
	global_load_dwordx4 v[28:31], v[40:41], off offset:536
	global_load_dwordx4 v[44:47], v[40:41], off offset:552
	global_load_dwordx4 v[36:39], v[40:41], off offset:568
	global_load_dwordx4 v[52:55], v[40:41], off offset:584
	global_load_dwordx4 v[48:51], v[40:41], off offset:600
	ds_read2_b64 v[56:59], v81 offset1:78
	ds_read2_b64 v[62:65], v81 offset0:156 offset1:234
	v_add_u32_e32 v10, 0x800, v81
	v_add_u32_e32 v43, 0xc00, v81
	;; [unrolled: 1-line block ×4, first 2 shown]
	ds_read_b64 v[40:41], v81 offset:7488
	ds_read2_b64 v[66:69], v10 offset0:56 offset1:134
	ds_read2_b64 v[70:73], v43 offset0:84 offset1:162
	;; [unrolled: 1-line block ×4, first 2 shown]
	s_waitcnt lgkmcnt(6)
	v_mov_b32_e32 v78, v59
	s_waitcnt lgkmcnt(5)
	v_mov_b32_e32 v126, v63
	v_mov_b32_e32 v128, v65
	s_mov_b32 s44, 0xbeedf032
	s_mov_b32 s45, 0x3f62ad3f
	;; [unrolled: 1-line block ×40, first 2 shown]
	v_accvgpr_write_b32 a6, v84
	s_waitcnt vmcnt(5)
	v_pk_mul_f32 v[130:131], v[58:59], v[32:33]
	s_nop 0
	v_mov_b32_e32 v130, v33
	s_waitcnt vmcnt(3) lgkmcnt(3)
	v_pk_mul_f32 v[138:139], v[68:69], v[44:45] op_sel:[0,1]
	v_mov_b32_e32 v140, v47
	v_pk_mul_f32 v[132:133], v[62:63], v[34:35]
	s_waitcnt vmcnt(2)
	v_mov_b32_e32 v144, v39
	s_waitcnt vmcnt(1)
	v_mov_b32_e32 v148, v55
	;; [unrolled: 2-line block ×3, first 2 shown]
	v_mov_b32_e32 v154, v131
	v_pk_mul_f32 v[130:131], v[58:59], v[130:131]
	v_pk_fma_f32 v[160:161], v[68:69], v[44:45], v[138:139] op_sel:[0,0,1] op_sel_hi:[1,1,0] neg_lo:[0,0,1] neg_hi:[0,0,1]
	v_pk_fma_f32 v[68:69], v[68:69], v[44:45], v[138:139] op_sel:[0,0,1] op_sel_hi:[1,0,0]
	s_waitcnt lgkmcnt(2)
	v_pk_mul_f32 v[138:139], v[70:71], v[140:141] op_sel_hi:[1,0]
	v_mov_b32_e32 v132, v35
	v_pk_mul_f32 v[134:135], v[64:65], v[28:29]
	s_waitcnt lgkmcnt(1)
	v_pk_mul_f32 v[140:141], v[74:75], v[144:145] op_sel_hi:[1,0]
	s_waitcnt lgkmcnt(0)
	v_pk_mul_f32 v[144:145], v[122:123], v[148:149] op_sel_hi:[1,0]
	v_pk_mul_f32 v[148:149], v[40:41], v[152:153] op_sel_hi:[1,0]
	v_pk_fma_f32 v[152:153], v[58:59], v[32:33], v[154:155] neg_lo:[0,0,1] neg_hi:[0,0,1]
	v_pk_fma_f32 v[58:59], v[78:79], v[32:33], v[130:131]
	v_mov_b32_e32 v161, v69
	v_pk_fma_f32 v[68:69], v[70:71], v[46:47], v[138:139] op_sel:[0,0,1] op_sel_hi:[1,1,0] neg_lo:[0,0,1] neg_hi:[0,0,1]
	v_pk_fma_f32 v[70:71], v[70:71], v[46:47], v[138:139] op_sel:[0,0,1] op_sel_hi:[1,0,0]
	v_mov_b32_e32 v134, v29
	v_pk_mul_f32 v[142:143], v[72:73], v[36:37] op_sel:[0,1]
	v_mov_b32_e32 v156, v133
	v_pk_mul_f32 v[132:133], v[62:63], v[132:133]
	v_mov_b32_e32 v69, v71
	v_pk_fma_f32 v[70:71], v[40:41], v[50:51], v[148:149] op_sel:[0,0,1] op_sel_hi:[1,0,0]
	v_mov_b32_e32 v61, v58
	v_mov_b32_e32 v136, v31
	v_pk_mul_f32 v[146:147], v[76:77], v[52:53] op_sel:[0,1]
	v_pk_mul_f32 v[150:151], v[124:125], v[48:49] op_sel:[0,1]
	v_mov_b32_e32 v158, v135
	v_pk_mul_f32 v[134:135], v[64:65], v[134:135]
	v_pk_fma_f32 v[162:163], v[72:73], v[36:37], v[142:143] op_sel:[0,0,1] op_sel_hi:[1,1,0] neg_lo:[0,0,1] neg_hi:[0,0,1]
	v_pk_fma_f32 v[72:73], v[72:73], v[36:37], v[142:143] op_sel:[0,0,1] op_sel_hi:[1,0,0]
	v_pk_fma_f32 v[78:79], v[126:127], v[34:35], v[132:133]
	v_pk_fma_f32 v[132:133], v[40:41], v[50:51], v[148:149] op_sel:[0,0,1] op_sel_hi:[1,0,0] neg_lo:[0,0,1] neg_hi:[0,0,1]
	v_pk_add_f32 v[40:41], v[60:61], v[70:71]
	v_pk_mul_f32 v[136:137], v[66:67], v[136:137] op_sel_hi:[1,0]
	v_pk_fma_f32 v[142:143], v[76:77], v[52:53], v[146:147] op_sel:[0,0,1] op_sel_hi:[1,1,0] neg_lo:[0,0,1] neg_hi:[0,0,1]
	v_pk_fma_f32 v[76:77], v[76:77], v[52:53], v[146:147] op_sel:[0,0,1] op_sel_hi:[1,0,0]
	v_pk_fma_f32 v[146:147], v[124:125], v[48:49], v[150:151] op_sel:[0,0,1] op_sel_hi:[1,0,0] neg_lo:[0,0,1] neg_hi:[0,0,1]
	v_pk_fma_f32 v[124:125], v[124:125], v[48:49], v[150:151] op_sel:[0,0,1] op_sel_hi:[1,0,0]
	v_pk_fma_f32 v[62:63], v[62:63], v[34:35], v[156:157] neg_lo:[0,0,1] neg_hi:[0,0,1]
	v_pk_fma_f32 v[126:127], v[128:129], v[28:29], v[134:135]
	v_mov_b32_e32 v163, v73
	v_pk_fma_f32 v[72:73], v[74:75], v[38:39], v[140:141] op_sel:[0,0,1] op_sel_hi:[1,1,0] neg_lo:[0,0,1] neg_hi:[0,0,1]
	v_pk_fma_f32 v[74:75], v[74:75], v[38:39], v[140:141] op_sel:[0,0,1] op_sel_hi:[1,0,0]
	v_mov_b32_e32 v40, v71
	v_pk_fma_f32 v[64:65], v[64:65], v[28:29], v[158:159] neg_lo:[0,0,1] neg_hi:[0,0,1]
	v_pk_fma_f32 v[128:129], v[66:67], v[30:31], v[136:137] op_sel:[0,0,1] op_sel_hi:[1,1,0] neg_lo:[0,0,1] neg_hi:[0,0,1]
	v_pk_fma_f32 v[66:67], v[66:67], v[30:31], v[136:137] op_sel:[0,0,1] op_sel_hi:[1,0,0]
	v_mov_b32_e32 v143, v77
	v_pk_fma_f32 v[76:77], v[122:123], v[54:55], v[144:145] op_sel:[0,0,1] op_sel_hi:[1,0,0] neg_lo:[0,0,1] neg_hi:[0,0,1]
	v_pk_fma_f32 v[122:123], v[122:123], v[54:55], v[144:145] op_sel:[0,0,1] op_sel_hi:[1,0,0]
	v_mov_b32_e32 v73, v75
	v_mov_b32_e32 v75, v71
	v_pk_add_f32 v[168:169], v[58:59], v[40:41] neg_lo:[0,1] neg_hi:[0,1]
	v_pk_add_f32 v[166:167], v[62:63], v[146:147]
	v_pk_add_f32 v[70:71], v[62:63], v[146:147] neg_lo:[0,1] neg_hi:[0,1]
	v_mov_b32_e32 v40, v125
	v_mov_b32_e32 v63, v126
	;; [unrolled: 1-line block ×8, first 2 shown]
	v_pk_add_f32 v[172:173], v[78:79], v[40:41] neg_lo:[0,1] neg_hi:[0,1]
	v_pk_add_f32 v[146:147], v[64:65], v[76:77]
	v_pk_add_f32 v[62:63], v[62:63], v[122:123]
	v_pk_add_f32 v[76:77], v[64:65], v[76:77] neg_lo:[0,1] neg_hi:[0,1]
	v_mov_b32_e32 v40, v123
	v_pk_add_f32 v[64:65], v[56:57], v[152:153]
	v_pk_add_f32 v[122:123], v[56:57], v[60:61]
	v_mov_b32_e32 v135, v78
	v_mov_b32_e32 v65, v123
	;; [unrolled: 1-line block ×3, first 2 shown]
	v_pk_add_f32 v[64:65], v[64:65], v[134:135]
	v_mov_b32_e32 v74, v132
	v_pk_add_f32 v[64:65], v[64:65], v[136:137]
	v_pk_add_f32 v[164:165], v[152:153], v[132:133]
	;; [unrolled: 1-line block ×3, first 2 shown]
	v_pk_add_f32 v[132:133], v[152:153], v[132:133] neg_lo:[0,1] neg_hi:[0,1]
	v_pk_add_f32 v[64:65], v[64:65], v[160:161]
	v_mov_b32_e32 v131, v125
	v_pk_add_f32 v[64:65], v[64:65], v[68:69]
	v_mov_b32_e32 v165, v132
	;; [unrolled: 2-line block ×3, first 2 shown]
	v_pk_add_f32 v[64:65], v[64:65], v[72:73]
	v_pk_add_f32 v[150:151], v[126:127], v[40:41] neg_lo:[0,1] neg_hi:[0,1]
	v_pk_add_f32 v[64:65], v[64:65], v[142:143]
	v_mov_b32_e32 v40, v168
	v_pk_add_f32 v[64:65], v[64:65], v[66:67]
	v_pk_mul_f32 v[66:67], v[164:165], s[2:3]
	v_pk_add_f32 v[64:65], v[64:65], v[130:131]
	v_pk_add_f32 v[58:59], v[58:59], v[124:125]
	;; [unrolled: 1-line block ×3, first 2 shown]
	v_pk_add_f32 v[138:139], v[68:69], v[162:163] neg_lo:[0,1] neg_hi:[0,1]
	v_pk_add_f32 v[136:137], v[64:65], v[74:75]
	v_pk_fma_f32 v[68:69], v[168:169], s[44:45], v[66:67] neg_lo:[1,0,0] neg_hi:[1,0,0]
	v_pk_fma_f32 v[64:65], v[40:41], s[44:45], v[66:67]
	v_mov_b32_e32 v167, v70
	v_mov_b32_e32 v69, v65
	;; [unrolled: 1-line block ×3, first 2 shown]
	v_pk_mul_f32 v[70:71], v[166:167], s[34:35]
	v_pk_add_f32 v[144:145], v[160:161], v[72:73]
	v_pk_add_f32 v[126:127], v[160:161], v[72:73] neg_lo:[0,1] neg_hi:[0,1]
	v_pk_add_f32 v[72:73], v[56:57], v[68:69]
	v_pk_fma_f32 v[74:75], v[172:173], s[16:17], v[70:71] neg_lo:[1,0,0] neg_hi:[1,0,0]
	v_pk_fma_f32 v[68:69], v[58:59], s[16:17], v[70:71]
	v_mov_b32_e32 v147, v76
	v_mov_b32_e32 v75, v69
	v_pk_add_f32 v[122:123], v[74:75], v[72:73]
	v_mov_b32_e32 v62, v150
	v_pk_mul_f32 v[74:75], v[146:147], s[38:39]
	v_pk_add_f32 v[148:149], v[128:129], v[142:143]
	v_pk_fma_f32 v[76:77], v[150:151], s[22:23], v[74:75] neg_lo:[1,0,0] neg_hi:[1,0,0]
	v_pk_fma_f32 v[72:73], v[62:63], s[22:23], v[74:75]
	v_pk_add_f32 v[78:79], v[128:129], v[142:143] neg_lo:[0,1] neg_hi:[0,1]
	v_mov_b32_e32 v77, v73
	v_pk_add_f32 v[124:125], v[76:77], v[122:123]
	v_mov_b32_e32 v77, v149
	v_mov_b32_e32 v149, v78
	v_mov_b32_e32 v76, v79
	v_pk_mul_f32 v[122:123], v[148:149], s[40:41]
	v_pk_mul_f32 v[152:153], v[164:165], s[34:35]
	v_pk_fma_f32 v[128:129], v[76:77], s[10:11], v[122:123] neg_lo:[1,0,0] neg_hi:[1,0,0]
	v_pk_fma_f32 v[78:79], v[76:77], s[10:11], v[122:123]
	v_pk_fma_f32 v[178:179], v[168:169], s[16:17], v[152:153] neg_lo:[1,0,0] neg_hi:[1,0,0]
	v_mov_b32_e32 v129, v79
	v_pk_add_f32 v[130:131], v[128:129], v[124:125]
	v_mov_b32_e32 v125, v145
	v_mov_b32_e32 v145, v126
	v_mov_b32_e32 v124, v127
	v_pk_mul_f32 v[128:129], v[144:145], s[42:43]
	v_pk_mul_f32 v[156:157], v[166:167], s[40:41]
	v_pk_fma_f32 v[132:133], v[124:125], s[14:15], v[128:129] neg_lo:[1,0,0] neg_hi:[1,0,0]
	v_pk_fma_f32 v[126:127], v[124:125], s[14:15], v[128:129]
	v_pk_fma_f32 v[180:181], v[172:173], s[10:11], v[156:157] neg_lo:[1,0,0] neg_hi:[1,0,0]
	;; [unrolled: 10-line block ×3, first 2 shown]
	v_mov_b32_e32 v139, v133
	v_pk_add_f32 v[138:139], v[138:139], v[142:143]
	ds_write2_b64 v81, v[136:137], v[138:139] offset1:78
	v_pk_fma_f32 v[136:137], v[40:41], s[16:17], v[152:153]
	v_pk_fma_f32 v[138:139], v[58:59], s[10:11], v[156:157]
	v_mov_b32_e32 v179, v137
	v_mov_b32_e32 v181, v139
	v_pk_fma_f32 v[142:143], v[62:63], s[18:19], v[158:159]
	v_pk_mul_f32 v[162:163], v[148:149], s[28:29]
	s_mov_b32 s2, s23
	s_mov_b32 s3, s20
	v_pk_add_f32 v[178:179], v[56:57], v[178:179]
	v_mov_b32_e32 v183, v143
	v_pk_fma_f32 v[184:185], v[76:77], s[26:27], v[162:163] neg_lo:[1,0,0] neg_hi:[1,0,0]
	v_pk_fma_f32 v[154:155], v[76:77], s[26:27], v[162:163]
	v_pk_mul_f32 v[170:171], v[144:145], s[2:3]
	v_pk_add_f32 v[178:179], v[180:181], v[178:179]
	v_mov_b32_e32 v185, v155
	v_pk_fma_f32 v[186:187], v[124:125], s[20:21], v[170:171] neg_lo:[1,0,0] neg_hi:[1,0,0]
	v_pk_fma_f32 v[160:161], v[124:125], s[20:21], v[170:171]
	v_pk_mul_f32 v[176:177], v[140:141], s[48:49]
	v_pk_add_f32 v[178:179], v[182:183], v[178:179]
	v_mov_b32_e32 v187, v161
	v_pk_fma_f32 v[188:189], v[130:131], s[24:25], v[176:177] neg_lo:[1,0,0] neg_hi:[1,0,0]
	v_pk_fma_f32 v[174:175], v[130:131], s[24:25], v[176:177]
	v_pk_add_f32 v[178:179], v[184:185], v[178:179]
	v_mov_b32_e32 v189, v175
	v_pk_add_f32 v[178:179], v[186:187], v[178:179]
	v_pk_mul_f32 v[184:185], v[164:165], s[38:39]
	v_pk_add_f32 v[208:209], v[188:189], v[178:179]
	v_pk_fma_f32 v[198:199], v[168:169], s[22:23], v[184:185] neg_lo:[1,0,0] neg_hi:[1,0,0]
	v_pk_fma_f32 v[178:179], v[40:41], s[22:23], v[184:185]
	v_pk_mul_f32 v[188:189], v[166:167], s[46:47]
	v_mov_b32_e32 v199, v179
	v_pk_fma_f32 v[210:211], v[172:173], s[18:19], v[188:189] neg_lo:[1,0,0] neg_hi:[1,0,0]
	v_pk_fma_f32 v[180:181], v[58:59], s[18:19], v[188:189]
	v_pk_mul_f32 v[192:193], v[146:147], s[30:31]
	v_mov_b32_e32 v211, v181
	v_pk_fma_f32 v[212:213], v[150:151], s[36:37], v[192:193] neg_lo:[1,0,0] neg_hi:[1,0,0]
	v_pk_fma_f32 v[182:183], v[62:63], s[36:37], v[192:193]
	v_pk_mul_f32 v[194:195], v[148:149], s[48:49]
	v_pk_add_f32 v[198:199], v[56:57], v[198:199]
	v_mov_b32_e32 v213, v183
	v_pk_fma_f32 v[214:215], v[76:77], s[24:25], v[194:195] neg_lo:[1,0,0] neg_hi:[1,0,0]
	v_pk_fma_f32 v[186:187], v[76:77], s[24:25], v[194:195]
	v_pk_mul_f32 v[196:197], v[144:145], s[34:35]
	v_pk_add_f32 v[210:211], v[210:211], v[198:199]
	;; [unrolled: 5-line block ×3, first 2 shown]
	v_mov_b32_e32 v217, v191
	v_pk_fma_f32 v[218:219], v[130:131], s[14:15], v[200:201] neg_lo:[1,0,0] neg_hi:[1,0,0]
	v_pk_fma_f32 v[198:199], v[130:131], s[14:15], v[200:201]
	v_pk_add_f32 v[210:211], v[214:215], v[210:211]
	v_mov_b32_e32 v219, v199
	v_pk_add_f32 v[210:211], v[216:217], v[210:211]
	v_pk_mul_f32 v[214:215], v[166:167], s[28:29]
	v_pk_add_f32 v[210:211], v[218:219], v[210:211]
	ds_write2_b64 v81, v[208:209], v[210:211] offset0:156 offset1:234
	v_pk_mul_f32 v[208:209], v[164:165], s[40:41]
	v_pk_fma_f32 v[216:217], v[172:173], s[26:27], v[214:215] neg_lo:[1,0,0] neg_hi:[1,0,0]
	v_pk_fma_f32 v[210:211], v[168:169], s[10:11], v[208:209] neg_lo:[1,0,0] neg_hi:[1,0,0]
	v_pk_fma_f32 v[212:213], v[40:41], s[10:11], v[208:209]
	v_pk_fma_f32 v[218:219], v[58:59], s[26:27], v[214:215]
	v_mov_b32_e32 v211, v213
	v_mov_b32_e32 v217, v219
	v_pk_add_f32 v[210:211], v[56:57], v[210:211]
	s_mov_b32 s30, 0x3e750f2a
	v_pk_add_f32 v[210:211], v[216:217], v[210:211]
	v_pk_mul_f32 v[216:217], v[146:147], s[48:49]
	s_mov_b32 s51, s30
	v_pk_fma_f32 v[220:221], v[150:151], s[24:25], v[216:217] neg_lo:[1,0,0] neg_hi:[1,0,0]
	v_pk_fma_f32 v[222:223], v[62:63], s[24:25], v[216:217]
	s_mov_b32 s31, s19
	v_mov_b32_e32 v221, v223
	v_pk_add_f32 v[210:211], v[220:221], v[210:211]
	v_pk_mul_f32 v[220:221], v[148:149], s[38:39]
	s_mov_b32 s28, 0x3f52af12
	v_pk_fma_f32 v[224:225], v[76:77], s[22:23], v[220:221] neg_lo:[1,0,0] neg_hi:[1,0,0]
	v_pk_fma_f32 v[226:227], v[76:77], s[22:23], v[220:221]
	s_mov_b32 s53, s28
	v_mov_b32_e32 v225, v227
	v_pk_add_f32 v[210:211], v[224:225], v[210:211]
	v_pk_mul_f32 v[224:225], v[144:145], s[50:51]
	s_mov_b32 s29, s17
	v_pk_fma_f32 v[228:229], v[124:125], s[30:31], v[224:225] neg_lo:[1,0,0] neg_hi:[1,0,0]
	v_pk_fma_f32 v[230:231], v[124:125], s[30:31], v[224:225]
	v_pk_mul_f32 v[240:241], v[166:167], s[2:3]
	v_mov_b32_e32 v229, v231
	v_pk_add_f32 v[210:211], v[228:229], v[210:211]
	v_pk_mul_f32 v[228:229], v[140:141], s[52:53]
	v_pk_fma_f32 v[242:243], v[172:173], s[20:21], v[240:241] neg_lo:[1,0,0] neg_hi:[1,0,0]
	v_pk_fma_f32 v[232:233], v[130:131], s[28:29], v[228:229] neg_lo:[1,0,0] neg_hi:[1,0,0]
	v_pk_fma_f32 v[234:235], v[130:131], s[28:29], v[228:229]
	v_pk_fma_f32 v[244:245], v[58:59], s[20:21], v[240:241]
	v_mov_b32_e32 v233, v235
	v_pk_add_f32 v[210:211], v[232:233], v[210:211]
	v_pk_mul_f32 v[232:233], v[164:165], s[42:43]
	v_mov_b32_e32 v243, v245
	v_pk_fma_f32 v[236:237], v[168:169], s[14:15], v[232:233] neg_lo:[1,0,0] neg_hi:[1,0,0]
	v_pk_fma_f32 v[238:239], v[40:41], s[14:15], v[232:233]
	v_pk_mul_f32 v[166:167], v[166:167], s[48:49]
	v_mov_b32_e32 v237, v239
	v_pk_add_f32 v[236:237], v[56:57], v[236:237]
	v_pk_fma_f32 v[172:173], v[172:173], s[24:25], v[166:167] neg_lo:[1,0,0] neg_hi:[1,0,0]
	v_pk_add_f32 v[236:237], v[242:243], v[236:237]
	v_pk_mul_f32 v[242:243], v[146:147], s[34:35]
	v_pk_mul_f32 v[146:147], v[146:147], s[42:43]
	v_pk_fma_f32 v[246:247], v[150:151], s[16:17], v[242:243] neg_lo:[1,0,0] neg_hi:[1,0,0]
	v_pk_fma_f32 v[248:249], v[62:63], s[16:17], v[242:243]
	v_pk_fma_f32 v[150:151], v[150:151], s[14:15], v[146:147] neg_lo:[1,0,0] neg_hi:[1,0,0]
	v_mov_b32_e32 v247, v249
	v_pk_add_f32 v[236:237], v[246:247], v[236:237]
	v_pk_mul_f32 v[246:247], v[148:149], s[50:51]
	v_pk_mul_f32 v[148:149], v[148:149], s[52:53]
	v_pk_fma_f32 v[250:251], v[76:77], s[30:31], v[246:247] neg_lo:[1,0,0] neg_hi:[1,0,0]
	v_pk_fma_f32 v[252:253], v[76:77], s[30:31], v[246:247]
	v_mov_b32_e32 v61, 0
	v_mov_b32_e32 v251, v253
	v_pk_add_f32 v[236:237], v[250:251], v[236:237]
	v_pk_mul_f32 v[250:251], v[144:145], s[48:49]
	v_pk_mul_f32 v[144:145], v[144:145], s[40:41]
	v_pk_fma_f32 v[254:255], v[124:125], s[24:25], v[250:251] neg_lo:[1,0,0] neg_hi:[1,0,0]
	v_pk_fma_f32 v[204:205], v[124:125], s[24:25], v[250:251]
	v_pk_fma_f32 v[84:85], v[124:125], s[10:11], v[144:145]
	v_mov_b32_e32 v255, v205
	v_pk_add_f32 v[236:237], v[254:255], v[236:237]
	v_pk_mul_f32 v[254:255], v[140:141], s[40:41]
	v_pk_mul_f32 v[140:141], v[140:141], s[2:3]
	v_pk_fma_f32 v[86:87], v[130:131], s[10:11], v[254:255] neg_lo:[1,0,0] neg_hi:[1,0,0]
	v_pk_fma_f32 v[82:83], v[130:131], s[10:11], v[254:255]
	v_pk_fma_f32 v[88:89], v[130:131], s[20:21], v[140:141]
	v_mov_b32_e32 v87, v83
	v_pk_add_f32 v[86:87], v[86:87], v[236:237]
	ds_write2_b64 v10, v[210:211], v[86:87] offset0:56 offset1:134
	v_pk_mul_f32 v[86:87], v[164:165], s[46:47]
	v_pk_fma_f32 v[210:211], v[58:59], s[24:25], v[166:167]
	v_pk_fma_f32 v[164:165], v[168:169], s[18:19], v[86:87] neg_lo:[1,0,0] neg_hi:[1,0,0]
	v_pk_fma_f32 v[168:169], v[40:41], s[18:19], v[86:87]
	v_mov_b32_e32 v173, v211
	v_mov_b32_e32 v165, v169
	v_pk_add_f32 v[164:165], v[56:57], v[164:165]
	v_pk_fma_f32 v[86:87], v[40:41], s[18:19], v[86:87] neg_lo:[0,0,1] neg_hi:[0,0,1]
	v_pk_add_f32 v[164:165], v[172:173], v[164:165]
	v_pk_fma_f32 v[172:173], v[62:63], s[14:15], v[146:147]
	v_pk_fma_f32 v[236:237], v[76:77], s[28:29], v[148:149]
	v_mov_b32_e32 v151, v173
	v_pk_add_f32 v[150:151], v[150:151], v[164:165]
	v_pk_fma_f32 v[164:165], v[76:77], s[28:29], v[148:149] neg_lo:[1,0,0] neg_hi:[1,0,0]
	v_mov_b32_e32 v169, v87
	v_pk_fma_f32 v[86:87], v[58:59], s[24:25], v[166:167] neg_lo:[0,0,1] neg_hi:[0,0,1]
	v_mov_b32_e32 v165, v237
	v_mov_b32_e32 v211, v87
	v_pk_fma_f32 v[86:87], v[62:63], s[14:15], v[146:147] neg_lo:[0,0,1] neg_hi:[0,0,1]
	v_pk_add_f32 v[150:151], v[164:165], v[150:151]
	v_pk_fma_f32 v[164:165], v[124:125], s[10:11], v[144:145] neg_lo:[1,0,0] neg_hi:[1,0,0]
	v_mov_b32_e32 v173, v87
	v_pk_fma_f32 v[86:87], v[76:77], s[28:29], v[148:149] neg_lo:[0,0,1] neg_hi:[0,0,1]
	v_mov_b32_e32 v165, v85
	v_mov_b32_e32 v237, v87
	v_pk_fma_f32 v[86:87], v[124:125], s[10:11], v[144:145] neg_lo:[0,0,1] neg_hi:[0,0,1]
	v_pk_add_f32 v[150:151], v[164:165], v[150:151]
	v_pk_fma_f32 v[164:165], v[130:131], s[20:21], v[140:141] neg_lo:[1,0,0] neg_hi:[1,0,0]
	v_mov_b32_e32 v85, v87
	v_pk_fma_f32 v[86:87], v[130:131], s[20:21], v[140:141] neg_lo:[0,0,1] neg_hi:[0,0,1]
	v_mov_b32_e32 v165, v89
	v_mov_b32_e32 v89, v87
	v_pk_add_f32 v[86:87], v[56:57], v[168:169]
	v_pk_add_f32 v[150:151], v[164:165], v[150:151]
	;; [unrolled: 1-line block ×3, first 2 shown]
	v_lshl_add_u64 v[60:61], s[8:9], 0, v[60:61]
	v_pk_add_f32 v[86:87], v[172:173], v[86:87]
	s_movk_i32 s2, 0x1000
	v_pk_add_f32 v[86:87], v[236:237], v[86:87]
	s_mov_b32 s8, s45
	v_pk_add_f32 v[84:85], v[84:85], v[86:87]
	s_mov_b32 s48, s15
	v_pk_add_f32 v[84:85], v[88:89], v[84:85]
	ds_write2_b64 v43, v[150:151], v[84:85] offset0:84 offset1:162
	v_pk_fma_f32 v[84:85], v[40:41], s[14:15], v[232:233] neg_lo:[0,0,1] neg_hi:[0,0,1]
	s_nop 0
	v_mov_b32_e32 v239, v85
	v_pk_fma_f32 v[84:85], v[58:59], s[20:21], v[240:241] neg_lo:[0,0,1] neg_hi:[0,0,1]
	s_nop 0
	v_mov_b32_e32 v245, v85
	v_pk_fma_f32 v[84:85], v[62:63], s[16:17], v[242:243] neg_lo:[0,0,1] neg_hi:[0,0,1]
	s_nop 0
	v_mov_b32_e32 v249, v85
	v_pk_fma_f32 v[84:85], v[76:77], s[30:31], v[246:247] neg_lo:[0,0,1] neg_hi:[0,0,1]
	s_nop 0
	v_mov_b32_e32 v253, v85
	v_pk_fma_f32 v[84:85], v[124:125], s[24:25], v[250:251] neg_lo:[0,0,1] neg_hi:[0,0,1]
	s_nop 0
	v_mov_b32_e32 v205, v85
	v_pk_fma_f32 v[84:85], v[130:131], s[10:11], v[254:255] neg_lo:[0,0,1] neg_hi:[0,0,1]
	s_nop 0
	v_mov_b32_e32 v83, v85
	v_pk_add_f32 v[84:85], v[56:57], v[238:239]
	s_nop 0
	v_pk_add_f32 v[84:85], v[244:245], v[84:85]
	s_nop 0
	;; [unrolled: 2-line block ×5, first 2 shown]
	v_pk_add_f32 v[82:83], v[82:83], v[84:85]
	v_pk_fma_f32 v[84:85], v[40:41], s[10:11], v[208:209] neg_lo:[0,0,1] neg_hi:[0,0,1]
	s_nop 0
	v_mov_b32_e32 v213, v85
	v_pk_fma_f32 v[84:85], v[58:59], s[26:27], v[214:215] neg_lo:[0,0,1] neg_hi:[0,0,1]
	s_nop 0
	v_mov_b32_e32 v219, v85
	;; [unrolled: 3-line block ×6, first 2 shown]
	v_pk_add_f32 v[84:85], v[56:57], v[212:213]
	s_nop 0
	v_pk_add_f32 v[84:85], v[218:219], v[84:85]
	s_nop 0
	;; [unrolled: 2-line block ×5, first 2 shown]
	v_pk_add_f32 v[84:85], v[234:235], v[84:85]
	ds_write2_b64 v206, v[82:83], v[84:85] offset0:112 offset1:190
	v_pk_fma_f32 v[82:83], v[40:41], s[22:23], v[184:185] neg_lo:[0,0,1] neg_hi:[0,0,1]
	v_pk_fma_f32 v[84:85], v[40:41], s[16:17], v[152:153] neg_lo:[0,0,1] neg_hi:[0,0,1]
	v_mov_b32_e32 v179, v83
	v_pk_fma_f32 v[82:83], v[58:59], s[18:19], v[188:189] neg_lo:[0,0,1] neg_hi:[0,0,1]
	v_mov_b32_e32 v137, v85
	;; [unrolled: 2-line block ×8, first 2 shown]
	v_pk_fma_f32 v[84:85], v[124:125], s[20:21], v[170:171] neg_lo:[0,0,1] neg_hi:[0,0,1]
	v_pk_fma_f32 v[40:41], v[40:41], s[44:45], v[66:67] neg_lo:[0,0,1] neg_hi:[0,0,1]
	v_mov_b32_e32 v191, v83
	v_pk_fma_f32 v[82:83], v[130:131], s[14:15], v[200:201] neg_lo:[0,0,1] neg_hi:[0,0,1]
	v_mov_b32_e32 v161, v85
	;; [unrolled: 2-line block ×3, first 2 shown]
	v_mov_b32_e32 v199, v83
	v_pk_add_f32 v[82:83], v[56:57], v[178:179]
	v_mov_b32_e32 v175, v85
	v_pk_add_f32 v[84:85], v[56:57], v[136:137]
	v_pk_add_f32 v[40:41], v[56:57], v[64:65]
	v_pk_fma_f32 v[56:57], v[58:59], s[16:17], v[70:71] neg_lo:[0,0,1] neg_hi:[0,0,1]
	v_pk_add_f32 v[82:83], v[180:181], v[82:83]
	v_mov_b32_e32 v69, v57
	v_pk_fma_f32 v[56:57], v[62:63], s[22:23], v[74:75] neg_lo:[0,0,1] neg_hi:[0,0,1]
	v_pk_add_f32 v[40:41], v[68:69], v[40:41]
	v_mov_b32_e32 v73, v57
	;; [unrolled: 3-line block ×3, first 2 shown]
	v_pk_fma_f32 v[56:57], v[124:125], s[14:15], v[128:129] neg_lo:[0,0,1] neg_hi:[0,0,1]
	v_pk_add_f32 v[84:85], v[138:139], v[84:85]
	v_pk_add_f32 v[40:41], v[78:79], v[40:41]
	v_mov_b32_e32 v127, v57
	v_pk_fma_f32 v[56:57], v[130:131], s[18:19], v[134:135] neg_lo:[0,0,1] neg_hi:[0,0,1]
	v_pk_add_f32 v[82:83], v[182:183], v[82:83]
	v_pk_add_f32 v[84:85], v[142:143], v[84:85]
	;; [unrolled: 1-line block ×3, first 2 shown]
	v_mov_b32_e32 v133, v57
	v_pk_add_f32 v[82:83], v[186:187], v[82:83]
	v_pk_add_f32 v[84:85], v[154:155], v[84:85]
	;; [unrolled: 1-line block ×5, first 2 shown]
	ds_write_b64 v81, v[40:41] offset:7488
	v_add_co_u32_e64 v40, s[2:3], s2, v60
	v_pk_add_f32 v[82:83], v[198:199], v[82:83]
	v_pk_add_f32 v[84:85], v[174:175], v[84:85]
	v_addc_co_u32_e64 v41, s[2:3], 0, v61, s[2:3]
	ds_write2_b64 v207, v[82:83], v[84:85] offset0:12 offset1:90
	s_waitcnt lgkmcnt(0)
	s_barrier
	global_load_dwordx2 v[40:41], v[40:41], off offset:4016
	s_mov_b64 s[2:3], 0x1fb0
	v_lshl_add_u64 v[56:57], v[60:61], 0, s[2:3]
	global_load_dwordx2 v[64:65], v[56:57], off offset:624
	global_load_dwordx2 v[66:67], v[56:57], off offset:1248
	;; [unrolled: 1-line block ×5, first 2 shown]
	s_movk_i32 s2, 0x3000
	v_add_co_u32_e64 v58, s[2:3], s2, v60
	s_nop 1
	v_addc_co_u32_e64 v59, s[2:3], 0, v61, s[2:3]
	global_load_dwordx2 v[74:75], v[58:59], off offset:192
	global_load_dwordx2 v[76:77], v[56:57], off offset:3744
	;; [unrolled: 1-line block ×5, first 2 shown]
                                        ; kill: killed $vgpr56_vgpr57
	global_load_dwordx2 v[86:87], v[58:59], off offset:2688
	global_load_dwordx2 v[88:89], v[58:59], off offset:3312
	ds_read2_b64 v[56:59], v81 offset1:78
	s_mov_b32 s2, s11
	s_waitcnt vmcnt(12) lgkmcnt(0)
	v_mul_f32_e32 v60, v57, v41
	v_fma_f32 v122, v56, v40, -v60
	ds_read2_b64 v[60:63], v81 offset0:156 offset1:234
	v_mul_f32_e32 v123, v56, v41
	v_fmac_f32_e32 v123, v57, v40
	s_waitcnt vmcnt(11)
	v_mul_f32_e32 v40, v59, v65
	v_mul_f32_e32 v41, v58, v65
	v_fma_f32 v40, v58, v64, -v40
	v_fmac_f32_e32 v41, v59, v64
	ds_read2_b64 v[56:59], v10 offset0:56 offset1:134
	ds_write2_b64 v81, v[122:123], v[40:41] offset1:78
	s_waitcnt vmcnt(10) lgkmcnt(2)
	v_mul_f32_e32 v40, v61, v67
	v_mul_f32_e32 v41, v60, v67
	v_fma_f32 v40, v60, v66, -v40
	v_fmac_f32_e32 v41, v61, v66
	s_waitcnt vmcnt(9)
	v_mul_f32_e32 v60, v63, v69
	v_mul_f32_e32 v61, v62, v69
	v_fma_f32 v60, v62, v68, -v60
	v_fmac_f32_e32 v61, v63, v68
	ds_write2_b64 v81, v[40:41], v[60:61] offset0:156 offset1:234
	s_waitcnt vmcnt(8) lgkmcnt(2)
	v_mul_f32_e32 v40, v57, v71
	v_mul_f32_e32 v41, v56, v71
	ds_read2_b64 v[60:63], v43 offset0:84 offset1:162
	v_fma_f32 v40, v56, v70, -v40
	v_fmac_f32_e32 v41, v57, v70
	s_waitcnt vmcnt(7)
	v_mul_f32_e32 v56, v59, v73
	v_mul_f32_e32 v57, v58, v73
	v_fma_f32 v56, v58, v72, -v56
	v_fmac_f32_e32 v57, v59, v72
	ds_write2_b64 v10, v[40:41], v[56:57] offset0:56 offset1:134
	ds_read2_b64 v[56:59], v206 offset0:112 offset1:190
	s_waitcnt vmcnt(5) lgkmcnt(2)
	v_mul_f32_e32 v40, v61, v77
	v_mul_f32_e32 v41, v60, v77
	v_fma_f32 v40, v60, v76, -v40
	v_fmac_f32_e32 v41, v61, v76
	v_mul_f32_e32 v60, v63, v75
	v_mul_f32_e32 v61, v62, v75
	v_fma_f32 v60, v62, v74, -v60
	v_fmac_f32_e32 v61, v63, v74
	ds_write2_b64 v43, v[40:41], v[60:61] offset0:84 offset1:162
	s_waitcnt vmcnt(4) lgkmcnt(1)
	v_mul_f32_e32 v40, v57, v79
	v_mul_f32_e32 v41, v56, v79
	v_fma_f32 v40, v56, v78, -v40
	v_fmac_f32_e32 v41, v57, v78
	s_waitcnt vmcnt(3)
	v_mul_f32_e32 v56, v59, v83
	ds_read2_b64 v[60:63], v207 offset0:12 offset1:90
	v_mul_f32_e32 v57, v58, v83
	v_fma_f32 v56, v58, v82, -v56
	v_fmac_f32_e32 v57, v59, v82
	ds_write2_b64 v206, v[40:41], v[56:57] offset0:112 offset1:190
	ds_read_b64 v[56:57], v81 offset:7488
	s_waitcnt vmcnt(2) lgkmcnt(2)
	v_mul_f32_e32 v40, v61, v85
	v_mul_f32_e32 v41, v60, v85
	s_waitcnt vmcnt(1)
	v_mul_f32_e32 v58, v63, v87
	v_mul_f32_e32 v59, v62, v87
	v_fma_f32 v40, v60, v84, -v40
	v_fmac_f32_e32 v41, v61, v84
	v_fma_f32 v58, v62, v86, -v58
	v_fmac_f32_e32 v59, v63, v86
	ds_write2_b64 v207, v[40:41], v[58:59] offset0:12 offset1:90
	s_waitcnt vmcnt(0) lgkmcnt(1)
	v_mul_f32_e32 v40, v57, v89
	v_mul_f32_e32 v41, v56, v89
	v_fma_f32 v40, v56, v88, -v40
	v_fmac_f32_e32 v41, v57, v88
	ds_write_b64 v81, v[40:41] offset:7488
	s_waitcnt lgkmcnt(0)
	s_barrier
	ds_read2_b64 v[56:59], v81 offset1:78
	ds_read2_b64 v[74:77], v81 offset0:156 offset1:234
	ds_read2_b64 v[148:151], v10 offset0:56 offset1:134
	ds_read_b64 v[40:41], v81 offset:7488
	ds_read2_b64 v[152:155], v43 offset0:84 offset1:162
	ds_read2_b64 v[156:159], v206 offset0:112 offset1:190
	;; [unrolled: 1-line block ×3, first 2 shown]
	s_waitcnt lgkmcnt(6)
	v_pk_add_f32 v[78:79], v[56:57], v[58:59]
	s_waitcnt lgkmcnt(3)
	v_pk_add_f32 v[126:127], v[58:59], v[40:41] neg_lo:[0,1] neg_hi:[0,1]
	v_pk_add_f32 v[124:125], v[40:41], v[58:59]
	s_waitcnt lgkmcnt(1)
	v_pk_add_f32 v[136:137], v[158:159], v[148:149]
	s_waitcnt lgkmcnt(0)
	v_pk_add_f32 v[128:129], v[162:163], v[74:75]
	v_pk_add_f32 v[130:131], v[74:75], v[162:163] neg_lo:[0,1] neg_hi:[0,1]
	v_pk_add_f32 v[74:75], v[78:79], v[74:75]
	v_pk_add_f32 v[132:133], v[160:161], v[76:77]
	;; [unrolled: 1-line block ×3, first 2 shown]
	v_pk_add_f32 v[134:135], v[76:77], v[160:161] neg_lo:[0,1] neg_hi:[0,1]
	v_mov_b32_e32 v122, v128
	v_mov_b32_e32 v123, v130
	v_pk_add_f32 v[78:79], v[78:79], v[148:149]
	v_pk_add_f32 v[138:139], v[148:149], v[158:159] neg_lo:[0,1] neg_hi:[0,1]
	v_pk_mul_f32 v[170:171], v[122:123], s[34:35]
	v_mov_b32_e32 v122, v132
	v_mov_b32_e32 v123, v134
	v_pk_add_f32 v[78:79], v[78:79], v[150:151]
	v_pk_add_f32 v[140:141], v[156:157], v[150:151]
	v_pk_add_f32 v[142:143], v[150:151], v[156:157] neg_lo:[0,1] neg_hi:[0,1]
	v_pk_mul_f32 v[178:179], v[122:123], s[38:39]
	v_mov_b32_e32 v122, v136
	v_mov_b32_e32 v123, v138
	v_pk_add_f32 v[78:79], v[78:79], v[152:153]
	v_pk_mul_f32 v[58:59], v[126:127], s[44:45] op_sel_hi:[1,0]
	v_pk_add_f32 v[144:145], v[154:155], v[152:153]
	v_pk_add_f32 v[146:147], v[152:153], v[154:155] neg_lo:[0,1] neg_hi:[0,1]
	v_pk_mul_f32 v[186:187], v[122:123], s[40:41]
	v_mov_b32_e32 v122, v140
	v_mov_b32_e32 v123, v142
	v_pk_add_f32 v[150:151], v[78:79], v[154:155]
	v_pk_fma_f32 v[60:61], v[124:125], s[8:9], v[58:59] op_sel:[0,0,1] op_sel_hi:[1,0,0]
	v_pk_fma_f32 v[58:59], v[124:125], s[8:9], v[58:59] op_sel:[0,0,1] op_sel_hi:[1,0,0] neg_lo:[0,0,1] neg_hi:[0,0,1]
	v_pk_mul_f32 v[194:195], v[122:123], s[42:43]
	v_mov_b32_e32 v122, v144
	v_mov_b32_e32 v123, v146
	v_pk_add_f32 v[150:151], v[150:151], v[156:157]
	v_mov_b32_e32 v63, v59
	v_mov_b32_e32 v59, v61
	v_pk_mul_f32 v[204:205], v[122:123], s[46:47]
	v_pk_mul_f32 v[122:123], v[126:127], s[16:17] op_sel_hi:[1,0]
	v_pk_add_f32 v[150:151], v[150:151], v[158:159]
	v_mov_b32_e32 v62, v60
	v_pk_add_f32 v[84:85], v[56:57], v[58:59]
	v_pk_mul_f32 v[58:59], v[130:131], s[10:11] op_sel_hi:[1,0]
	v_pk_fma_f32 v[78:79], v[124:125], s[34:35], v[122:123] op_sel:[0,0,1] op_sel_hi:[1,0,0]
	v_pk_fma_f32 v[122:123], v[124:125], s[34:35], v[122:123] op_sel:[0,0,1] op_sel_hi:[1,0,0] neg_lo:[0,0,1] neg_hi:[0,0,1]
	v_pk_add_f32 v[150:151], v[150:151], v[160:161]
	v_pk_add_f32 v[82:83], v[56:57], v[62:63]
	v_pk_fma_f32 v[62:63], v[128:129], s[2:3], v[58:59] op_sel:[0,0,1] op_sel_hi:[1,0,0]
	v_pk_fma_f32 v[58:59], v[128:129], s[2:3], v[58:59] op_sel:[0,0,1] op_sel_hi:[1,0,0] neg_lo:[0,0,1] neg_hi:[0,0,1]
	v_pk_mul_f32 v[60:61], v[134:135], s[18:19] op_sel_hi:[1,0]
	v_mov_b32_e32 v168, v131
	v_mov_b32_e32 v169, v129
	;; [unrolled: 1-line block ×4, first 2 shown]
	v_pk_add_f32 v[150:151], v[150:151], v[162:163]
	v_mov_b32_e32 v86, v62
	v_mov_b32_e32 v87, v59
	v_pk_fma_f32 v[66:67], v[132:133], s[50:51], v[60:61] op_sel:[0,0,1] op_sel_hi:[1,0,0]
	v_pk_fma_f32 v[60:61], v[132:133], s[50:51], v[60:61] op_sel:[0,0,1] op_sel_hi:[1,0,0] neg_lo:[0,0,1] neg_hi:[0,0,1]
	v_pk_mul_f32 v[64:65], v[138:139], s[26:27] op_sel_hi:[1,0]
	v_pk_fma_f32 v[172:173], v[168:169], s[16:17], v[170:171] neg_lo:[1,0,0] neg_hi:[1,0,0]
	v_pk_fma_f32 v[174:175], v[168:169], s[16:17], v[170:171]
	v_mov_b32_e32 v176, v135
	v_mov_b32_e32 v177, v133
	v_pk_add_f32 v[150:151], v[150:151], v[40:41]
	v_pk_add_f32 v[40:41], v[56:57], v[152:153]
	v_pk_fma_f32 v[152:153], v[168:169], s[16:17], v[170:171] neg_lo:[0,0,1] neg_hi:[0,0,1]
	v_mov_b32_e32 v88, v66
	v_mov_b32_e32 v89, v61
	v_pk_fma_f32 v[70:71], v[136:137], s[48:49], v[64:65] op_sel:[0,0,1] op_sel_hi:[1,0,0]
	v_pk_fma_f32 v[64:65], v[136:137], s[48:49], v[64:65] op_sel:[0,0,1] op_sel_hi:[1,0,0] neg_lo:[0,0,1] neg_hi:[0,0,1]
	s_mov_b32 s44, s23
	v_pk_mul_f32 v[68:69], v[142:143], s[20:21] op_sel_hi:[1,0]
	v_mov_b32_e32 v173, v175
	v_pk_fma_f32 v[180:181], v[176:177], s[22:23], v[178:179] neg_lo:[1,0,0] neg_hi:[1,0,0]
	v_pk_fma_f32 v[182:183], v[176:177], s[22:23], v[178:179]
	v_mov_b32_e32 v184, v139
	v_mov_b32_e32 v185, v137
	;; [unrolled: 1-line block ×3, first 2 shown]
	v_pk_add_f32 v[40:41], v[86:87], v[40:41]
	v_pk_fma_f32 v[86:87], v[176:177], s[22:23], v[178:179] neg_lo:[0,0,1] neg_hi:[0,0,1]
	v_mov_b32_e32 v164, v70
	v_mov_b32_e32 v165, v65
	v_pk_fma_f32 v[72:73], v[140:141], s[44:45], v[68:69] op_sel:[0,0,1] op_sel_hi:[1,0,0]
	v_pk_fma_f32 v[68:69], v[140:141], s[44:45], v[68:69] op_sel:[0,0,1] op_sel_hi:[1,0,0] neg_lo:[0,0,1] neg_hi:[0,0,1]
	v_mov_b32_e32 v181, v183
	v_pk_fma_f32 v[188:189], v[184:185], s[10:11], v[186:187] neg_lo:[1,0,0] neg_hi:[1,0,0]
	v_pk_fma_f32 v[190:191], v[184:185], s[10:11], v[186:187]
	v_mov_b32_e32 v192, v143
	v_mov_b32_e32 v193, v141
	v_pk_add_f32 v[82:83], v[174:175], v[82:83]
	v_mov_b32_e32 v183, v87
	v_pk_add_f32 v[40:41], v[88:89], v[40:41]
	v_pk_fma_f32 v[86:87], v[184:185], s[10:11], v[186:187] neg_lo:[0,0,1] neg_hi:[0,0,1]
	v_mov_b32_e32 v166, v72
	v_mov_b32_e32 v167, v69
	;; [unrolled: 1-line block ×3, first 2 shown]
	v_pk_fma_f32 v[196:197], v[192:193], s[14:15], v[194:195] neg_lo:[1,0,0] neg_hi:[1,0,0]
	v_pk_fma_f32 v[198:199], v[192:193], s[14:15], v[194:195]
	v_mov_b32_e32 v200, v147
	v_mov_b32_e32 v201, v145
	v_pk_add_f32 v[82:83], v[182:183], v[82:83]
	v_mov_b32_e32 v191, v87
	v_pk_add_f32 v[40:41], v[164:165], v[40:41]
	v_pk_fma_f32 v[86:87], v[192:193], s[14:15], v[194:195] neg_lo:[0,0,1] neg_hi:[0,0,1]
	v_mov_b32_e32 v197, v199
	v_pk_fma_f32 v[208:209], v[200:201], s[18:19], v[204:205] neg_lo:[1,0,0] neg_hi:[1,0,0]
	v_pk_fma_f32 v[210:211], v[200:201], s[18:19], v[204:205]
	v_pk_add_f32 v[84:85], v[172:173], v[84:85]
	v_pk_add_f32 v[82:83], v[190:191], v[82:83]
	v_mov_b32_e32 v199, v87
	v_pk_add_f32 v[86:87], v[166:167], v[40:41]
	v_pk_fma_f32 v[40:41], v[200:201], s[18:19], v[204:205] neg_lo:[0,0,1] neg_hi:[0,0,1]
	v_mov_b32_e32 v209, v211
	v_pk_mul_f32 v[74:75], v[146:147], s[24:25] op_sel_hi:[1,0]
	v_pk_add_f32 v[84:85], v[180:181], v[84:85]
	v_pk_add_f32 v[82:83], v[198:199], v[82:83]
	v_mov_b32_e32 v211, v41
	v_pk_fma_f32 v[76:77], v[144:145], s[8:9], v[74:75] op_sel:[0,0,1] op_sel_hi:[1,0,0]
	v_pk_fma_f32 v[74:75], v[144:145], s[8:9], v[74:75] op_sel:[0,0,1] op_sel_hi:[1,0,0] neg_lo:[0,0,1] neg_hi:[0,0,1]
	v_pk_add_f32 v[84:85], v[188:189], v[84:85]
	v_pk_add_f32 v[82:83], v[210:211], v[82:83]
	v_mov_b32_e32 v148, v76
	v_mov_b32_e32 v149, v75
	v_pk_add_f32 v[84:85], v[196:197], v[84:85]
	s_barrier
	ds_write2_b64 v202, v[150:151], v[82:83] offset1:1
	v_pk_mul_f32 v[82:83], v[126:127], s[22:23] op_sel_hi:[1,0]
	v_pk_add_f32 v[40:41], v[208:209], v[84:85]
	v_pk_add_f32 v[84:85], v[148:149], v[86:87]
	v_pk_fma_f32 v[150:151], v[124:125], s[44:45], v[82:83] op_sel:[0,0,1] op_sel_hi:[1,0,0]
	v_pk_fma_f32 v[154:155], v[124:125], s[44:45], v[82:83] op_sel:[0,0,1] op_sel_hi:[1,0,0] neg_lo:[0,0,1] neg_hi:[0,0,1]
	v_pk_mul_f32 v[86:87], v[130:131], s[18:19] op_sel_hi:[1,0]
	v_mov_b32_e32 v82, v150
	v_mov_b32_e32 v83, v155
	v_pk_fma_f32 v[156:157], v[128:129], s[50:51], v[86:87] op_sel:[0,0,1] op_sel_hi:[1,0,0]
	v_pk_fma_f32 v[148:149], v[128:129], s[50:51], v[86:87] op_sel:[0,0,1] op_sel_hi:[1,0,0] neg_lo:[0,0,1] neg_hi:[0,0,1]
	v_pk_mul_f32 v[88:89], v[134:135], s[36:37] op_sel_hi:[1,0]
	v_pk_add_f32 v[82:83], v[56:57], v[82:83]
	v_mov_b32_e32 v86, v156
	v_mov_b32_e32 v87, v149
	v_pk_fma_f32 v[160:161], v[132:133], s[2:3], v[88:89] op_sel:[0,0,1] op_sel_hi:[1,0,0]
	v_pk_fma_f32 v[152:153], v[132:133], s[2:3], v[88:89] op_sel:[0,0,1] op_sel_hi:[1,0,0] neg_lo:[0,0,1] neg_hi:[0,0,1]
	v_pk_mul_f32 v[158:159], v[138:139], s[24:25] op_sel_hi:[1,0]
	v_mov_b32_e32 v88, v160
	v_mov_b32_e32 v89, v153
	v_pk_fma_f32 v[164:165], v[136:137], s[8:9], v[158:159] op_sel:[0,0,1] op_sel_hi:[1,0,0]
	v_pk_fma_f32 v[158:159], v[136:137], s[8:9], v[158:159] op_sel:[0,0,1] op_sel_hi:[1,0,0] neg_lo:[0,0,1] neg_hi:[0,0,1]
	v_pk_mul_f32 v[162:163], v[142:143], s[16:17] op_sel_hi:[1,0]
	v_pk_add_f32 v[82:83], v[86:87], v[82:83]
	v_mov_b32_e32 v170, v164
	v_mov_b32_e32 v171, v159
	v_pk_fma_f32 v[166:167], v[140:141], s[34:35], v[162:163] op_sel:[0,0,1] op_sel_hi:[1,0,0]
	v_pk_fma_f32 v[162:163], v[140:141], s[34:35], v[162:163] op_sel:[0,0,1] op_sel_hi:[1,0,0] neg_lo:[0,0,1] neg_hi:[0,0,1]
	v_pk_mul_f32 v[168:169], v[146:147], s[14:15] op_sel_hi:[1,0]
	v_pk_add_f32 v[82:83], v[88:89], v[82:83]
	v_mov_b32_e32 v172, v166
	v_mov_b32_e32 v173, v163
	v_pk_fma_f32 v[174:175], v[144:145], s[48:49], v[168:169] op_sel:[0,0,1] op_sel_hi:[1,0,0]
	v_pk_fma_f32 v[168:169], v[144:145], s[48:49], v[168:169] op_sel:[0,0,1] op_sel_hi:[1,0,0] neg_lo:[0,0,1] neg_hi:[0,0,1]
	v_pk_add_f32 v[82:83], v[170:171], v[82:83]
	v_mov_b32_e32 v176, v174
	v_mov_b32_e32 v177, v169
	v_pk_add_f32 v[82:83], v[172:173], v[82:83]
	v_pk_mul_f32 v[88:89], v[130:131], s[26:27] op_sel_hi:[1,0]
	v_pk_add_f32 v[82:83], v[176:177], v[82:83]
	ds_write2_b64 v202, v[84:85], v[82:83] offset0:2 offset1:3
	v_pk_mul_f32 v[82:83], v[126:127], s[10:11] op_sel_hi:[1,0]
	v_pk_fma_f32 v[170:171], v[128:129], s[48:49], v[88:89] op_sel:[0,0,1] op_sel_hi:[1,0,0]
	v_pk_fma_f32 v[84:85], v[124:125], s[2:3], v[82:83] op_sel:[0,0,1] op_sel_hi:[1,0,0]
	v_pk_fma_f32 v[82:83], v[124:125], s[2:3], v[82:83] op_sel:[0,0,1] op_sel_hi:[1,0,0] neg_lo:[0,0,1] neg_hi:[0,0,1]
	v_mov_b32_e32 v86, v84
	v_mov_b32_e32 v87, v83
	v_pk_fma_f32 v[88:89], v[128:129], s[48:49], v[88:89] op_sel:[0,0,1] op_sel_hi:[1,0,0] neg_lo:[0,0,1] neg_hi:[0,0,1]
	v_pk_mul_f32 v[176:177], v[134:135], s[24:25] op_sel_hi:[1,0]
	v_pk_add_f32 v[86:87], v[56:57], v[86:87]
	v_mov_b32_e32 v172, v170
	v_mov_b32_e32 v173, v89
	v_pk_fma_f32 v[178:179], v[132:133], s[8:9], v[176:177] op_sel:[0,0,1] op_sel_hi:[1,0,0]
	v_pk_fma_f32 v[176:177], v[132:133], s[8:9], v[176:177] op_sel:[0,0,1] op_sel_hi:[1,0,0] neg_lo:[0,0,1] neg_hi:[0,0,1]
	v_pk_mul_f32 v[182:183], v[138:139], s[22:23] op_sel_hi:[1,0]
	v_mov_b32_e32 v180, v178
	v_mov_b32_e32 v181, v177
	v_pk_fma_f32 v[184:185], v[136:137], s[44:45], v[182:183] op_sel:[0,0,1] op_sel_hi:[1,0,0]
	v_pk_fma_f32 v[182:183], v[136:137], s[44:45], v[182:183] op_sel:[0,0,1] op_sel_hi:[1,0,0] neg_lo:[0,0,1] neg_hi:[0,0,1]
	v_pk_mul_f32 v[188:189], v[142:143], s[30:31] op_sel_hi:[1,0]
	v_pk_add_f32 v[86:87], v[172:173], v[86:87]
	v_mov_b32_e32 v186, v184
	v_mov_b32_e32 v187, v183
	v_pk_fma_f32 v[190:191], v[140:141], s[50:51], v[188:189] op_sel:[0,0,1] op_sel_hi:[1,0,0]
	v_pk_fma_f32 v[188:189], v[140:141], s[50:51], v[188:189] op_sel:[0,0,1] op_sel_hi:[1,0,0] neg_lo:[0,0,1] neg_hi:[0,0,1]
	v_pk_mul_f32 v[194:195], v[146:147], s[28:29] op_sel_hi:[1,0]
	v_pk_add_f32 v[86:87], v[180:181], v[86:87]
	v_mov_b32_e32 v192, v190
	v_mov_b32_e32 v193, v189
	v_pk_fma_f32 v[196:197], v[144:145], s[34:35], v[194:195] op_sel:[0,0,1] op_sel_hi:[1,0,0]
	v_pk_fma_f32 v[194:195], v[144:145], s[34:35], v[194:195] op_sel:[0,0,1] op_sel_hi:[1,0,0] neg_lo:[0,0,1] neg_hi:[0,0,1]
	v_pk_add_f32 v[86:87], v[186:187], v[86:87]
	v_pk_mul_f32 v[172:173], v[126:127], s[14:15] op_sel_hi:[1,0]
	v_mov_b32_e32 v198, v196
	v_mov_b32_e32 v199, v195
	v_pk_add_f32 v[86:87], v[192:193], v[86:87]
	v_pk_fma_f32 v[180:181], v[124:125], s[48:49], v[172:173] op_sel:[0,0,1] op_sel_hi:[1,0,0]
	v_pk_fma_f32 v[172:173], v[124:125], s[48:49], v[172:173] op_sel:[0,0,1] op_sel_hi:[1,0,0] neg_lo:[0,0,1] neg_hi:[0,0,1]
	v_pk_mul_f32 v[192:193], v[130:131], s[20:21] op_sel_hi:[1,0]
	v_pk_add_f32 v[86:87], v[198:199], v[86:87]
	v_mov_b32_e32 v186, v180
	v_mov_b32_e32 v187, v173
	v_pk_fma_f32 v[198:199], v[128:129], s[44:45], v[192:193] op_sel:[0,0,1] op_sel_hi:[1,0,0]
	v_pk_fma_f32 v[192:193], v[128:129], s[44:45], v[192:193] op_sel:[0,0,1] op_sel_hi:[1,0,0] neg_lo:[0,0,1] neg_hi:[0,0,1]
	v_pk_mul_f32 v[204:205], v[134:135], s[16:17] op_sel_hi:[1,0]
	v_pk_add_f32 v[186:187], v[56:57], v[186:187]
	v_mov_b32_e32 v200, v198
	v_mov_b32_e32 v201, v193
	v_pk_fma_f32 v[208:209], v[132:133], s[34:35], v[204:205] op_sel:[0,0,1] op_sel_hi:[1,0,0]
	v_pk_fma_f32 v[204:205], v[132:133], s[34:35], v[204:205] op_sel:[0,0,1] op_sel_hi:[1,0,0] neg_lo:[0,0,1] neg_hi:[0,0,1]
	v_mov_b32_e32 v210, v208
	v_mov_b32_e32 v211, v205
	v_pk_add_f32 v[186:187], v[200:201], v[186:187]
	v_pk_mul_f32 v[200:201], v[138:139], s[30:31] op_sel_hi:[1,0]
	v_pk_add_f32 v[186:187], v[210:211], v[186:187]
	v_pk_fma_f32 v[210:211], v[136:137], s[50:51], v[200:201] op_sel:[0,0,1] op_sel_hi:[1,0,0]
	v_pk_fma_f32 v[200:201], v[136:137], s[50:51], v[200:201] op_sel:[0,0,1] op_sel_hi:[1,0,0] neg_lo:[0,0,1] neg_hi:[0,0,1]
	v_mov_b32_e32 v212, v210
	v_mov_b32_e32 v213, v201
	v_pk_add_f32 v[186:187], v[212:213], v[186:187]
	v_pk_mul_f32 v[212:213], v[142:143], s[24:25] op_sel_hi:[1,0]
	v_mov_b32_e32 v173, v181
	v_pk_fma_f32 v[214:215], v[140:141], s[8:9], v[212:213] op_sel:[0,0,1] op_sel_hi:[1,0,0]
	v_pk_fma_f32 v[212:213], v[140:141], s[8:9], v[212:213] op_sel:[0,0,1] op_sel_hi:[1,0,0] neg_lo:[0,0,1] neg_hi:[0,0,1]
	v_mov_b32_e32 v216, v214
	v_mov_b32_e32 v217, v213
	v_pk_add_f32 v[186:187], v[216:217], v[186:187]
	v_pk_mul_f32 v[216:217], v[146:147], s[10:11] op_sel_hi:[1,0]
	v_mov_b32_e32 v83, v85
	v_pk_fma_f32 v[218:219], v[144:145], s[2:3], v[216:217] op_sel:[0,0,1] op_sel_hi:[1,0,0]
	v_pk_fma_f32 v[216:217], v[144:145], s[2:3], v[216:217] op_sel:[0,0,1] op_sel_hi:[1,0,0] neg_lo:[0,0,1] neg_hi:[0,0,1]
	v_mov_b32_e32 v220, v218
	v_mov_b32_e32 v221, v217
	v_pk_add_f32 v[186:187], v[220:221], v[186:187]
	ds_write2_b64 v202, v[86:87], v[186:187] offset0:4 offset1:5
	v_pk_mul_f32 v[86:87], v[126:127], s[18:19] op_sel_hi:[1,0]
	v_mov_b32_e32 v193, v199
	v_pk_fma_f32 v[126:127], v[124:125], s[50:51], v[86:87] op_sel:[0,0,1] op_sel_hi:[1,0,0]
	v_pk_fma_f32 v[86:87], v[124:125], s[50:51], v[86:87] op_sel:[0,0,1] op_sel_hi:[1,0,0] neg_lo:[0,0,1] neg_hi:[0,0,1]
	v_pk_mul_f32 v[124:125], v[130:131], s[24:25] op_sel_hi:[1,0]
	v_pk_add_f32 v[82:83], v[56:57], v[82:83]
	v_pk_fma_f32 v[130:131], v[128:129], s[8:9], v[124:125] op_sel:[0,0,1] op_sel_hi:[1,0,0]
	v_pk_fma_f32 v[124:125], v[128:129], s[8:9], v[124:125] op_sel:[0,0,1] op_sel_hi:[1,0,0] neg_lo:[0,0,1] neg_hi:[0,0,1]
	v_pk_mul_f32 v[128:129], v[134:135], s[14:15] op_sel_hi:[1,0]
	v_mov_b32_e32 v186, v130
	v_pk_fma_f32 v[134:135], v[132:133], s[48:49], v[128:129] op_sel:[0,0,1] op_sel_hi:[1,0,0]
	v_pk_fma_f32 v[128:129], v[132:133], s[48:49], v[128:129] op_sel:[0,0,1] op_sel_hi:[1,0,0] neg_lo:[0,0,1] neg_hi:[0,0,1]
	v_pk_mul_f32 v[132:133], v[138:139], s[28:29] op_sel_hi:[1,0]
	v_mov_b32_e32 v187, v125
	;; [unrolled: 4-line block ×4, first 2 shown]
	v_pk_fma_f32 v[146:147], v[144:145], s[44:45], v[140:141] op_sel:[0,0,1] op_sel_hi:[1,0,0]
	v_pk_fma_f32 v[140:141], v[144:145], s[44:45], v[140:141] op_sel:[0,0,1] op_sel_hi:[1,0,0] neg_lo:[0,0,1] neg_hi:[0,0,1]
	v_mov_b32_e32 v144, v126
	v_mov_b32_e32 v145, v87
	;; [unrolled: 1-line block ×3, first 2 shown]
	v_pk_add_f32 v[144:145], v[56:57], v[144:145]
	v_pk_add_f32 v[86:87], v[56:57], v[86:87]
	;; [unrolled: 1-line block ×3, first 2 shown]
	v_mov_b32_e32 v186, v134
	v_mov_b32_e32 v187, v129
	v_mov_b32_e32 v129, v135
	v_pk_add_f32 v[86:87], v[124:125], v[86:87]
	v_pk_add_f32 v[144:145], v[186:187], v[144:145]
	v_mov_b32_e32 v186, v138
	v_mov_b32_e32 v187, v133
	v_mov_b32_e32 v133, v139
	v_pk_add_f32 v[86:87], v[128:129], v[86:87]
	v_pk_add_f32 v[144:145], v[186:187], v[144:145]
	;; [unrolled: 5-line block ×4, first 2 shown]
	v_pk_add_f32 v[86:87], v[140:141], v[86:87]
	ds_write2_b64 v202, v[144:145], v[86:87] offset0:6 offset1:7
	v_pk_add_f32 v[86:87], v[56:57], v[172:173]
	v_mov_b32_e32 v205, v209
	v_pk_add_f32 v[86:87], v[192:193], v[86:87]
	v_mov_b32_e32 v177, v179
	;; [unrolled: 2-line block ×8, first 2 shown]
	v_pk_add_f32 v[82:83], v[188:189], v[82:83]
	v_pk_add_f32 v[86:87], v[216:217], v[86:87]
	;; [unrolled: 1-line block ×3, first 2 shown]
	v_mov_b32_e32 v155, v151
	v_mov_b32_e32 v123, v79
	ds_write2_b64 v202, v[86:87], v[82:83] offset0:8 offset1:9
	v_pk_add_f32 v[82:83], v[56:57], v[154:155]
	v_mov_b32_e32 v149, v157
	v_mov_b32_e32 v59, v63
	v_pk_add_f32 v[56:57], v[56:57], v[122:123]
	v_mov_b32_e32 v153, v161
	v_pk_add_f32 v[82:83], v[148:149], v[82:83]
	;; [unrolled: 2-line block ×9, first 2 shown]
	v_pk_add_f32 v[82:83], v[168:169], v[82:83]
	v_pk_add_f32 v[56:57], v[74:75], v[56:57]
	ds_write2_b64 v202, v[82:83], v[56:57] offset0:10 offset1:11
	ds_write_b64 v202, v[40:41] offset:96
	s_waitcnt lgkmcnt(0)
	s_barrier
	ds_read2_b64 v[56:59], v81 offset1:78
	ds_read2_b64 v[76:79], v81 offset0:169 offset1:247
	ds_read2_b64 v[72:75], v10 offset0:82 offset1:160
	ds_read2_b64 v[68:71], v43 offset0:123 offset1:201
	ds_read2_b64 v[64:67], v206 offset0:164 offset1:242
	ds_read2_b64 v[60:63], v207 offset0:77 offset1:155
	s_and_saveexec_b64 s[2:3], s[0:1]
	s_xor_b64 s[0:1], exec, s[2:3]
	s_or_saveexec_b64 s[0:1], s[0:1]
	v_mov_b32_e32 v158, v24
	v_mov_b32_e32 v159, v24
	;; [unrolled: 1-line block ×30, first 2 shown]
	s_xor_b64 exec, exec, s[0:1]
	s_cbranch_execz .LBB0_9
; %bb.8:
	v_add_u32_e32 v8, 0x400, v81
	v_add_u32_e32 v9, 0xe00, v81
	ds_read2_b64 v[120:123], v9 offset0:46 offset1:215
	ds_read2_b64 v[40:43], v8 offset0:28 offset1:197
	v_add_u32_e32 v8, 0x1800, v81
	ds_read2_b64 v[8:11], v8 offset0:64 offset1:233
	s_waitcnt lgkmcnt(2)
	v_mov_b32_e32 v112, v120
	s_waitcnt lgkmcnt(1)
	v_mov_b32_e32 v113, v43
	v_mov_b32_e32 v114, v121
	;; [unrolled: 1-line block ×4, first 2 shown]
	s_waitcnt lgkmcnt(0)
	v_mov_b32_e32 v121, v8
	v_mov_b32_e32 v8, v10
.LBB0_9:
	s_or_b64 exec, exec, s[0:1]
	s_waitcnt lgkmcnt(4)
	v_pk_mul_f32 v[24:25], v[24:25], v[76:77]
	s_waitcnt lgkmcnt(3)
	v_pk_mul_f32 v[26:27], v[26:27], v[72:73]
	s_waitcnt lgkmcnt(2)
	v_pk_mul_f32 v[16:17], v[16:17], v[68:69]
	v_pk_fma_f32 v[86:87], v[158:159], v[76:77], v[24:25] op_sel:[0,0,1] op_sel_hi:[1,1,0]
	v_pk_fma_f32 v[24:25], v[158:159], v[76:77], v[24:25] op_sel:[0,0,1] op_sel_hi:[1,1,0] neg_lo:[0,0,1] neg_hi:[0,0,1]
	v_pk_fma_f32 v[76:77], v[156:157], v[72:73], v[26:27] op_sel:[0,0,1] op_sel_hi:[1,1,0]
	v_pk_fma_f32 v[26:27], v[156:157], v[72:73], v[26:27] op_sel:[0,0,1] op_sel_hi:[1,1,0] neg_lo:[0,0,1] neg_hi:[0,0,1]
	s_waitcnt lgkmcnt(1)
	v_pk_mul_f32 v[18:19], v[18:19], v[64:65]
	v_mov_b32_e32 v77, v27
	v_pk_fma_f32 v[26:27], v[154:155], v[68:69], v[16:17] op_sel:[0,0,1] op_sel_hi:[1,1,0]
	v_pk_fma_f32 v[16:17], v[154:155], v[68:69], v[16:17] op_sel:[0,0,1] op_sel_hi:[1,1,0] neg_lo:[0,0,1] neg_hi:[0,0,1]
	s_waitcnt lgkmcnt(0)
	v_pk_mul_f32 v[82:83], v[118:119], v[60:61]
	v_mov_b32_e32 v27, v17
	v_pk_fma_f32 v[16:17], v[152:153], v[64:65], v[18:19] op_sel:[0,0,1] op_sel_hi:[1,1,0]
	v_pk_fma_f32 v[18:19], v[152:153], v[64:65], v[18:19] op_sel:[0,0,1] op_sel_hi:[1,1,0] neg_lo:[0,0,1] neg_hi:[0,0,1]
	v_mov_b32_e32 v87, v25
	v_mov_b32_e32 v17, v19
	v_pk_fma_f32 v[18:19], v[150:151], v[60:61], v[82:83] op_sel:[0,0,1] op_sel_hi:[1,1,0]
	v_pk_fma_f32 v[60:61], v[150:151], v[60:61], v[82:83] op_sel:[0,0,1] op_sel_hi:[1,1,0] neg_lo:[0,0,1] neg_hi:[0,0,1]
	v_mov_b32_e32 v10, v86
	v_mov_b32_e32 v19, v61
	v_pk_add_f32 v[64:65], v[26:27], v[18:19]
	s_mov_b32 s2, 0.5
	v_pk_add_f32 v[60:61], v[56:57], v[76:77]
	v_fmac_f32_e32 v10, -0.5, v64
	v_pk_add_f32 v[68:69], v[26:27], v[18:19] neg_lo:[0,1] neg_hi:[0,1]
	s_mov_b32 s3, 0x3f5db3d7
	v_pk_add_f32 v[26:27], v[86:87], v[26:27]
	v_fmac_f32_e32 v25, -0.5, v65
	v_pk_add_f32 v[60:61], v[60:61], v[16:17]
	v_fmamk_f32 v24, v69, 0xbf5db3d7, v10
	v_fmac_f32_e32 v10, 0x3f5db3d7, v69
	v_pk_add_f32 v[18:19], v[26:27], v[18:19]
	v_fmamk_f32 v26, v68, 0x3f5db3d7, v25
	v_fmac_f32_e32 v25, 0xbf5db3d7, v68
	v_pk_add_f32 v[68:69], v[76:77], v[16:17]
	v_pk_add_f32 v[16:17], v[76:77], v[16:17] neg_lo:[0,1] neg_hi:[0,1]
	s_mov_b32 s10, s3
	s_mov_b32 s8, s3
	;; [unrolled: 1-line block ×3, first 2 shown]
	v_pk_fma_f32 v[56:57], v[68:69], 0.5, v[56:57] op_sel_hi:[1,0,1] neg_lo:[1,0,0] neg_hi:[1,0,0]
	v_pk_mul_f32 v[16:17], v[16:17], s[10:11] op_sel_hi:[1,0]
	v_pk_mul_f32 v[26:27], v[26:27], s[8:9] op_sel_hi:[0,1]
	v_pk_add_f32 v[68:69], v[56:57], v[16:17] op_sel:[0,1] op_sel_hi:[1,0] neg_lo:[0,1] neg_hi:[0,1]
	v_pk_add_f32 v[16:17], v[56:57], v[16:17] op_sel:[0,1] op_sel_hi:[1,0]
	v_pk_fma_f32 v[72:73], v[24:25], s[2:3], v[26:27] neg_lo:[0,0,1] neg_hi:[0,0,1]
	v_pk_fma_f32 v[26:27], v[24:25], s[2:3], v[26:27] op_sel_hi:[0,1,1]
	v_mov_b32_e32 v24, v25
	s_mov_b32 s0, -0.5
	v_mov_b32_e32 v56, v68
	v_mov_b32_e32 v57, v17
	;; [unrolled: 1-line block ×3, first 2 shown]
	s_mov_b32 s1, s3
	v_pk_mul_f32 v[24:25], v[24:25], s[8:9] op_sel_hi:[0,1]
	v_pk_add_f32 v[64:65], v[60:61], v[18:19]
	v_pk_add_f32 v[26:27], v[56:57], v[72:73]
	v_pk_fma_f32 v[24:25], v[10:11], s[0:1], v[24:25] op_sel_hi:[0,1,1] neg_lo:[0,0,1] neg_hi:[0,0,1]
	v_mov_b32_e32 v17, v69
	s_barrier
	ds_write2_b64 v203, v[64:65], v[26:27] offset1:13
	v_pk_add_f32 v[26:27], v[16:17], v[24:25]
	v_pk_add_f32 v[18:19], v[60:61], v[18:19] neg_lo:[0,1] neg_hi:[0,1]
	v_pk_mul_f32 v[20:21], v[20:21], v[78:79]
	v_pk_mul_f32 v[22:23], v[22:23], v[74:75]
	ds_write2_b64 v203, v[26:27], v[18:19] offset0:26 offset1:39
	v_pk_add_f32 v[18:19], v[56:57], v[72:73] neg_lo:[0,1] neg_hi:[0,1]
	v_pk_add_f32 v[16:17], v[16:17], v[24:25] neg_lo:[0,1] neg_hi:[0,1]
	v_pk_mul_f32 v[12:13], v[12:13], v[70:71]
	ds_write2_b64 v203, v[18:19], v[16:17] offset0:52 offset1:65
	v_pk_fma_f32 v[16:17], v[148:149], v[78:79], v[20:21] op_sel:[0,0,1] op_sel_hi:[1,1,0]
	v_pk_fma_f32 v[18:19], v[148:149], v[78:79], v[20:21] op_sel:[0,0,1] op_sel_hi:[1,1,0] neg_lo:[0,0,1] neg_hi:[0,0,1]
	v_pk_fma_f32 v[20:21], v[146:147], v[74:75], v[22:23] op_sel:[0,0,1] op_sel_hi:[1,1,0]
	v_pk_fma_f32 v[22:23], v[146:147], v[74:75], v[22:23] op_sel:[0,0,1] op_sel_hi:[1,1,0] neg_lo:[0,0,1] neg_hi:[0,0,1]
	v_pk_mul_f32 v[14:15], v[14:15], v[66:67]
	v_mov_b32_e32 v21, v23
	v_pk_fma_f32 v[22:23], v[144:145], v[70:71], v[12:13] op_sel:[0,0,1] op_sel_hi:[1,1,0]
	v_pk_fma_f32 v[12:13], v[144:145], v[70:71], v[12:13] op_sel:[0,0,1] op_sel_hi:[1,1,0] neg_lo:[0,0,1] neg_hi:[0,0,1]
	v_pk_mul_f32 v[84:85], v[116:117], v[62:63]
	v_mov_b32_e32 v23, v13
	v_pk_fma_f32 v[12:13], v[142:143], v[66:67], v[14:15] op_sel:[0,0,1] op_sel_hi:[1,1,0]
	v_pk_fma_f32 v[14:15], v[142:143], v[66:67], v[14:15] op_sel:[0,0,1] op_sel_hi:[1,1,0] neg_lo:[0,0,1] neg_hi:[0,0,1]
	v_pk_fma_f32 v[24:25], v[140:141], v[62:63], v[84:85] op_sel:[0,0,1] op_sel_hi:[1,1,0] neg_lo:[0,0,1] neg_hi:[0,0,1]
	v_mov_b32_e32 v13, v15
	v_pk_fma_f32 v[14:15], v[140:141], v[62:63], v[84:85] op_sel:[0,0,1] op_sel_hi:[1,1,0]
	v_mov_b32_e32 v17, v19
	v_mov_b32_e32 v15, v25
	v_pk_add_f32 v[26:27], v[22:23], v[14:15]
	v_pk_add_f32 v[24:25], v[58:59], v[20:21]
	v_mov_b32_e32 v10, v16
	v_pk_add_f32 v[56:57], v[22:23], v[14:15] neg_lo:[0,1] neg_hi:[0,1]
	v_pk_add_f32 v[16:17], v[16:17], v[22:23]
	v_fmac_f32_e32 v19, -0.5, v27
	v_pk_add_f32 v[24:25], v[24:25], v[12:13]
	v_fmac_f32_e32 v10, -0.5, v26
	v_pk_add_f32 v[14:15], v[16:17], v[14:15]
	v_fmamk_f32 v16, v56, 0x3f5db3d7, v19
	v_pk_add_f32 v[26:27], v[20:21], v[12:13]
	v_pk_add_f32 v[12:13], v[20:21], v[12:13] neg_lo:[0,1] neg_hi:[0,1]
	v_fmamk_f32 v18, v57, 0xbf5db3d7, v10
	v_fmac_f32_e32 v19, 0xbf5db3d7, v56
	v_pk_fma_f32 v[26:27], v[26:27], 0.5, v[58:59] op_sel_hi:[1,0,1] neg_lo:[1,0,0] neg_hi:[1,0,0]
	v_pk_mul_f32 v[12:13], v[12:13], s[10:11] op_sel_hi:[1,0]
	v_pk_mul_f32 v[16:17], v[16:17], s[8:9] op_sel_hi:[0,1]
	v_fmac_f32_e32 v10, 0x3f5db3d7, v57
	v_pk_add_f32 v[20:21], v[26:27], v[12:13] op_sel:[0,1] op_sel_hi:[1,0] neg_lo:[0,1] neg_hi:[0,1]
	v_pk_add_f32 v[12:13], v[26:27], v[12:13] op_sel:[0,1] op_sel_hi:[1,0]
	v_pk_fma_f32 v[56:57], v[18:19], s[2:3], v[16:17] neg_lo:[0,0,1] neg_hi:[0,0,1]
	v_pk_fma_f32 v[16:17], v[18:19], s[2:3], v[16:17] op_sel_hi:[0,1,1]
	v_mov_b32_e32 v26, v20
	v_mov_b32_e32 v27, v13
	;; [unrolled: 1-line block ×3, first 2 shown]
	v_pk_add_f32 v[22:23], v[24:25], v[14:15]
	v_pk_add_f32 v[16:17], v[26:27], v[56:57]
	ds_write2_b64 v80, v[22:23], v[16:17] offset1:13
	v_mov_b32_e32 v16, v19
	v_pk_mul_f32 v[16:17], v[16:17], s[8:9] op_sel_hi:[0,1]
	v_pk_fma_f32 v[16:17], v[10:11], s[0:1], v[16:17] op_sel_hi:[0,1,1] neg_lo:[0,0,1] neg_hi:[0,0,1]
	v_mov_b32_e32 v13, v21
	v_pk_add_f32 v[18:19], v[12:13], v[16:17]
	v_pk_add_f32 v[14:15], v[24:25], v[14:15] neg_lo:[0,1] neg_hi:[0,1]
	v_mov_b32_e32 v138, v30
	v_mov_b32_e32 v139, v30
	;; [unrolled: 1-line block ×27, first 2 shown]
	ds_write2_b64 v80, v[18:19], v[14:15] offset0:26 offset1:39
	v_pk_add_f32 v[14:15], v[26:27], v[56:57] neg_lo:[0,1] neg_hi:[0,1]
	v_pk_add_f32 v[12:13], v[12:13], v[16:17] neg_lo:[0,1] neg_hi:[0,1]
	ds_write2_b64 v80, v[14:15], v[12:13] offset0:52 offset1:65
	s_and_saveexec_b64 s[10:11], vcc
	s_cbranch_execz .LBB0_11
; %bb.10:
	v_accvgpr_read_b32 v20, a7
	v_pk_mul_f32 v[12:13], v[2:3], v[114:115] op_sel_hi:[1,0]
	v_and_b32_e32 v20, 0xff, v20
	v_accvgpr_read_b32 v21, a1
	v_pk_mul_f32 v[14:15], v[6:7], v[8:9] op_sel:[0,1]
	v_lshl_add_u32 v22, v20, 3, v21
	v_pk_fma_f32 v[20:21], v[2:3], v[112:113], v[12:13] op_sel:[0,0,1] op_sel_hi:[1,1,0]
	v_pk_fma_f32 v[2:3], v[2:3], v[112:113], v[12:13] op_sel:[0,0,1] op_sel_hi:[1,0,0] neg_lo:[1,0,0] neg_hi:[1,0,0]
	v_pk_mul_f32 v[18:19], v[4:5], v[120:121] op_sel_hi:[1,0]
	v_mov_b32_e32 v10, v11
	v_mov_b32_e32 v21, v3
	v_pk_fma_f32 v[2:3], v[6:7], v[120:121], v[14:15] op_sel:[0,1,1] op_sel_hi:[1,1,0]
	v_pk_fma_f32 v[6:7], v[6:7], v[120:121], v[14:15] op_sel:[0,1,1] op_sel_hi:[1,1,0] neg_lo:[1,0,0] neg_hi:[1,0,0]
	v_pk_mul_f32 v[10:11], v[110:111], v[10:11] op_sel_hi:[1,0]
	v_mov_b32_e32 v3, v7
	v_pk_fma_f32 v[6:7], v[4:5], v[114:115], v[18:19] op_sel:[0,1,1] op_sel_hi:[1,1,0]
	v_pk_fma_f32 v[4:5], v[4:5], v[114:115], v[18:19] op_sel:[0,1,1] op_sel_hi:[1,1,0] neg_lo:[1,0,0] neg_hi:[1,0,0]
	v_pk_mul_f32 v[16:17], v[0:1], v[112:113] op_sel:[0,1]
	v_mov_b32_e32 v7, v5
	v_pk_fma_f32 v[4:5], v[110:111], v[8:9], v[10:11] op_sel:[0,0,1] op_sel_hi:[1,1,0]
	v_pk_fma_f32 v[8:9], v[110:111], v[8:9], v[10:11] op_sel:[0,0,1] op_sel_hi:[1,0,0] neg_lo:[1,0,0] neg_hi:[1,0,0]
	v_pk_fma_f32 v[10:11], v[0:1], v[42:43], v[16:17] op_sel:[0,0,1] op_sel_hi:[1,0,0]
	v_mov_b32_e32 v5, v9
	v_pk_fma_f32 v[0:1], v[0:1], v[42:43], v[16:17] op_sel:[0,0,1] op_sel_hi:[1,0,0] neg_lo:[1,0,0] neg_hi:[1,0,0]
	v_pk_add_f32 v[8:9], v[6:7], v[4:5]
	v_mov_b32_e32 v0, v10
	v_mov_b32_e32 v11, v1
	v_fmac_f32_e32 v0, -0.5, v8
	v_pk_add_f32 v[12:13], v[6:7], v[4:5] neg_lo:[0,1] neg_hi:[0,1]
	v_fmac_f32_e32 v1, -0.5, v9
	v_fmamk_f32 v8, v13, 0x3f5db3d7, v0
	v_fmamk_f32 v14, v12, 0xbf5db3d7, v1
	v_fmac_f32_e32 v0, 0xbf5db3d7, v13
	v_fmac_f32_e32 v1, 0x3f5db3d7, v12
	v_pk_add_f32 v[12:13], v[40:41], v[20:21]
	v_pk_add_f32 v[6:7], v[10:11], v[6:7]
	;; [unrolled: 1-line block ×4, first 2 shown]
	v_pk_add_f32 v[2:3], v[20:21], v[2:3] neg_lo:[0,1] neg_hi:[0,1]
	s_mov_b32 s14, s3
	v_pk_fma_f32 v[10:11], -0.5, v[10:11], v[40:41] op_sel_hi:[0,1,1]
	v_pk_mul_f32 v[2:3], v[2:3], s[14:15] op_sel_hi:[1,0]
	v_pk_add_f32 v[4:5], v[6:7], v[4:5]
	v_pk_add_f32 v[16:17], v[10:11], v[2:3] op_sel:[0,1] op_sel_hi:[1,0] neg_lo:[0,1] neg_hi:[0,1]
	v_pk_add_f32 v[2:3], v[10:11], v[2:3] op_sel:[0,1] op_sel_hi:[1,0]
	v_mov_b32_e32 v10, v16
	v_mov_b32_e32 v16, v1
	v_pk_mul_f32 v[18:19], v[16:17], s[8:9] op_sel_hi:[0,1]
	v_pk_fma_f32 v[20:21], v[0:1], s[2:3], v[18:19] neg_lo:[0,0,1] neg_hi:[0,0,1]
	v_pk_fma_f32 v[0:1], v[0:1], s[2:3], v[18:19] op_sel_hi:[0,1,1]
	v_mov_b32_e32 v11, v3
	v_mov_b32_e32 v21, v1
	v_pk_add_f32 v[6:7], v[12:13], v[4:5]
	v_pk_add_f32 v[0:1], v[10:11], v[20:21]
	v_add_u32_e32 v9, 0x1800, v22
	ds_write2_b64 v9, v[6:7], v[0:1] offset0:168 offset1:181
	v_pk_mul_f32 v[0:1], v[14:15], s[8:9] op_sel_hi:[0,1]
	v_pk_fma_f32 v[0:1], v[8:9], s[0:1], v[0:1] op_sel_hi:[0,1,1] neg_lo:[0,0,1] neg_hi:[0,0,1]
	v_mov_b32_e32 v3, v17
	v_pk_add_f32 v[6:7], v[2:3], v[0:1]
	v_pk_add_f32 v[4:5], v[12:13], v[4:5] neg_lo:[0,1] neg_hi:[0,1]
	ds_write2_b64 v9, v[6:7], v[4:5] offset0:194 offset1:207
	v_pk_add_f32 v[4:5], v[10:11], v[20:21] neg_lo:[0,1] neg_hi:[0,1]
	v_pk_add_f32 v[0:1], v[2:3], v[0:1] neg_lo:[0,1] neg_hi:[0,1]
	ds_write2_b64 v9, v[4:5], v[0:1] offset0:220 offset1:233
.LBB0_11:
	s_or_b64 exec, exec, s[10:11]
	v_add_u32_e32 v59, 0x800, v81
	s_waitcnt lgkmcnt(0)
	s_barrier
	ds_read2_b64 v[8:11], v59 offset0:56 offset1:134
	v_add_u32_e32 v58, 0xc00, v81
	ds_read2_b64 v[12:15], v58 offset0:84 offset1:162
	v_add_u32_e32 v57, 0x1000, v81
	ds_read2_b64 v[16:19], v57 offset0:112 offset1:190
	s_waitcnt lgkmcnt(2)
	v_pk_mul_f32 v[26:27], v[30:31], v[8:9]
	v_add_u32_e32 v56, 0x1800, v81
	v_pk_fma_f32 v[30:31], v[138:139], v[8:9], v[26:27] op_sel:[0,0,1] op_sel_hi:[1,1,0]
	v_pk_fma_f32 v[8:9], v[138:139], v[8:9], v[26:27] op_sel:[0,0,1] op_sel_hi:[1,1,0] neg_lo:[0,0,1] neg_hi:[0,0,1]
	ds_read2_b64 v[0:3], v81 offset1:78
	v_mov_b32_e32 v31, v9
	v_pk_mul_f32 v[8:9], v[44:45], v[10:11]
	ds_read2_b64 v[20:23], v56 offset0:12 offset1:90
	ds_read_b64 v[24:25], v81 offset:7488
	v_pk_fma_f32 v[26:27], v[136:137], v[10:11], v[8:9] op_sel:[0,0,1] op_sel_hi:[1,1,0]
	v_pk_fma_f32 v[8:9], v[136:137], v[10:11], v[8:9] op_sel:[0,0,1] op_sel_hi:[1,1,0] neg_lo:[0,0,1] neg_hi:[0,0,1]
	v_accvgpr_read_b32 v80, a0
	v_mov_b32_e32 v27, v9
	s_waitcnt lgkmcnt(4)
	v_pk_mul_f32 v[8:9], v[46:47], v[12:13]
	v_mad_u64_u32 v[6:7], s[0:1], s6, v80, 0
	v_pk_fma_f32 v[40:41], v[134:135], v[12:13], v[8:9] op_sel:[0,0,1] op_sel_hi:[1,1,0]
	v_pk_fma_f32 v[8:9], v[134:135], v[12:13], v[8:9] op_sel:[0,0,1] op_sel_hi:[1,1,0] neg_lo:[0,0,1] neg_hi:[0,0,1]
	s_mov_b32 s2, 0xbeedf032
	v_mov_b32_e32 v41, v9
	v_pk_mul_f32 v[8:9], v[36:37], v[14:15]
	s_mov_b32 s0, 0x3f62ad3f
	v_pk_fma_f32 v[36:37], v[132:133], v[14:15], v[8:9] op_sel:[0,0,1] op_sel_hi:[1,1,0]
	v_pk_fma_f32 v[8:9], v[132:133], v[14:15], v[8:9] op_sel:[0,0,1] op_sel_hi:[1,1,0] neg_lo:[0,0,1] neg_hi:[0,0,1]
	s_mov_b32 s16, 0xbf52af12
	v_mov_b32_e32 v37, v9
	s_waitcnt lgkmcnt(3)
	v_pk_mul_f32 v[8:9], v[38:39], v[16:17]
	s_mov_b32 s24, 0xbf7e222b
	v_pk_fma_f32 v[38:39], v[130:131], v[16:17], v[8:9] op_sel:[0,0,1] op_sel_hi:[1,1,0]
	v_pk_fma_f32 v[8:9], v[130:131], v[16:17], v[8:9] op_sel:[0,0,1] op_sel_hi:[1,1,0] neg_lo:[0,0,1] neg_hi:[0,0,1]
	s_mov_b32 s6, 0x3df6dbef
	v_mov_b32_e32 v39, v9
	v_pk_mul_f32 v[8:9], v[52:53], v[18:19]
	s_mov_b32 s10, 0xbf6f5d39
	v_pk_fma_f32 v[42:43], v[128:129], v[18:19], v[8:9] op_sel:[0,0,1] op_sel_hi:[1,1,0]
	v_pk_fma_f32 v[8:9], v[128:129], v[18:19], v[8:9] op_sel:[0,0,1] op_sel_hi:[1,1,0] neg_lo:[0,0,1] neg_hi:[0,0,1]
	s_waitcnt lgkmcnt(2)
	v_pk_mul_f32 v[18:19], v[32:33], v[2:3] op_sel:[1,0]
	v_mov_b32_e32 v43, v9
	s_waitcnt lgkmcnt(1)
	v_pk_mul_f32 v[8:9], v[54:55], v[20:21]
	v_pk_add_f32 v[64:65], v[30:31], v[42:43] neg_lo:[0,1] neg_hi:[0,1]
	v_pk_fma_f32 v[14:15], v[126:127], v[20:21], v[8:9] op_sel:[0,0,1] op_sel_hi:[1,1,0]
	v_pk_fma_f32 v[8:9], v[126:127], v[20:21], v[8:9] op_sel:[0,0,1] op_sel_hi:[1,1,0] neg_lo:[0,0,1] neg_hi:[0,0,1]
	v_pk_fma_f32 v[20:21], v[32:33], v[2:3], v[18:19] op_sel:[0,0,1] op_sel_hi:[1,1,0]
	v_mov_b32_e32 v15, v9
	v_pk_mul_f32 v[8:9], v[48:49], v[22:23]
	v_pk_fma_f32 v[2:3], v[32:33], v[2:3], v[18:19] op_sel:[0,0,1] op_sel_hi:[0,1,0] neg_lo:[0,0,1] neg_hi:[0,0,1]
	v_pk_fma_f32 v[12:13], v[124:125], v[22:23], v[8:9] op_sel:[0,0,1] op_sel_hi:[1,1,0]
	v_pk_fma_f32 v[8:9], v[124:125], v[22:23], v[8:9] op_sel:[0,0,1] op_sel_hi:[1,1,0] neg_lo:[0,0,1] neg_hi:[0,0,1]
	v_mov_b32_e32 v21, v3
	v_mov_b32_e32 v13, v9
	s_waitcnt lgkmcnt(0)
	v_pk_mul_f32 v[8:9], v[50:51], v[24:25]
	v_pk_add_f32 v[62:63], v[30:31], v[42:43]
	v_pk_fma_f32 v[16:17], v[122:123], v[24:25], v[8:9] op_sel:[0,0,1] op_sel_hi:[1,1,0]
	v_pk_fma_f32 v[8:9], v[122:123], v[24:25], v[8:9] op_sel:[0,0,1] op_sel_hi:[1,1,0] neg_lo:[0,0,1] neg_hi:[0,0,1]
	s_mov_b32 s8, 0xbeb58ec6
	v_mov_b32_e32 v17, v9
	ds_read2_b64 v[8:11], v81 offset0:156 offset1:234
	v_pk_add_f32 v[48:49], v[20:21], v[16:17] neg_lo:[0,1] neg_hi:[0,1]
	v_pk_add_f32 v[46:47], v[20:21], v[16:17]
	v_pk_add_f32 v[68:69], v[26:27], v[38:39] neg_lo:[0,1] neg_hi:[0,1]
	s_mov_b32 s14, 0xbf29c268
	s_waitcnt lgkmcnt(0)
	v_pk_mul_f32 v[2:3], v[34:35], v[8:9] op_sel:[1,0]
	v_mov_b32_e32 v4, s12
	v_pk_fma_f32 v[18:19], v[34:35], v[8:9], v[2:3] op_sel:[0,0,1] op_sel_hi:[1,1,0]
	v_pk_fma_f32 v[2:3], v[34:35], v[8:9], v[2:3] op_sel:[0,0,1] op_sel_hi:[0,1,0] neg_lo:[0,0,1] neg_hi:[0,0,1]
	v_mov_b32_e32 v19, v3
	v_pk_mul_f32 v[2:3], v[28:29], v[10:11] op_sel:[1,0]
	v_pk_mul_f32 v[8:9], v[48:49], s[2:3] op_sel_hi:[1,0]
	v_pk_fma_f32 v[22:23], v[28:29], v[10:11], v[2:3] op_sel:[0,0,1] op_sel_hi:[1,1,0]
	v_pk_fma_f32 v[2:3], v[28:29], v[10:11], v[2:3] op_sel:[0,0,1] op_sel_hi:[0,1,0] neg_lo:[0,0,1] neg_hi:[0,0,1]
	v_mov_b32_e32 v23, v3
	v_pk_add_f32 v[2:3], v[0:1], v[20:21]
	v_pk_add_f32 v[52:53], v[18:19], v[12:13] neg_lo:[0,1] neg_hi:[0,1]
	v_pk_add_f32 v[2:3], v[2:3], v[18:19]
	v_pk_add_f32 v[50:51], v[18:19], v[12:13]
	;; [unrolled: 1-line block ×3, first 2 shown]
	s_mov_b32 s2, 0x3f116cb1
	v_pk_add_f32 v[2:3], v[2:3], v[30:31]
	v_pk_add_f32 v[60:61], v[22:23], v[14:15] neg_lo:[0,1] neg_hi:[0,1]
	v_pk_add_f32 v[2:3], v[2:3], v[26:27]
	v_pk_add_f32 v[54:55], v[22:23], v[14:15]
	;; [unrolled: 1-line block ×5, first 2 shown]
	s_mov_b32 s12, 0xbf3f9e67
	v_pk_add_f32 v[2:3], v[2:3], v[38:39]
	v_pk_add_f32 v[72:73], v[40:41], v[36:37] neg_lo:[0,1] neg_hi:[0,1]
	v_pk_add_f32 v[2:3], v[2:3], v[42:43]
	s_mov_b32 s20, 0xbe750f2a
	v_pk_add_f32 v[2:3], v[2:3], v[14:15]
	v_pk_add_f32 v[70:71], v[40:41], v[36:37]
	;; [unrolled: 1-line block ×3, first 2 shown]
	v_pk_mul_f32 v[12:13], v[52:53], s[16:17] op_sel_hi:[1,0]
	v_pk_add_f32 v[32:33], v[2:3], v[16:17]
	v_pk_fma_f32 v[2:3], v[46:47], s[0:1], v[8:9] op_sel:[0,0,1] op_sel_hi:[1,0,0]
	v_pk_fma_f32 v[8:9], v[46:47], s[0:1], v[8:9] op_sel:[0,0,1] op_sel_hi:[1,0,0] neg_lo:[0,0,1] neg_hi:[0,0,1]
	v_mov_b32_e32 v10, v2
	v_mov_b32_e32 v11, v9
	v_pk_add_f32 v[16:17], v[0:1], v[10:11]
	v_pk_fma_f32 v[10:11], v[50:51], s[2:3], v[12:13] op_sel:[0,0,1] op_sel_hi:[1,0,0]
	v_pk_fma_f32 v[12:13], v[50:51], s[2:3], v[12:13] op_sel:[0,0,1] op_sel_hi:[1,0,0] neg_lo:[0,0,1] neg_hi:[0,0,1]
	v_mov_b32_e32 v18, v10
	v_mov_b32_e32 v19, v13
	v_pk_add_f32 v[18:19], v[18:19], v[16:17]
	v_pk_mul_f32 v[16:17], v[60:61], s[24:25] op_sel_hi:[1,0]
	s_mov_b32 s18, 0xbf788fa5
	v_pk_fma_f32 v[14:15], v[54:55], s[6:7], v[16:17] op_sel:[0,0,1] op_sel_hi:[1,0,0]
	v_pk_fma_f32 v[16:17], v[54:55], s[6:7], v[16:17] op_sel:[0,0,1] op_sel_hi:[1,0,0] neg_lo:[0,0,1] neg_hi:[0,0,1]
	v_mov_b32_e32 v20, v14
	v_mov_b32_e32 v21, v17
	v_pk_add_f32 v[22:23], v[20:21], v[18:19]
	v_pk_mul_f32 v[20:21], v[64:65], s[10:11] op_sel_hi:[1,0]
	v_pk_mul_f32 v[36:37], v[52:53], s[10:11] op_sel_hi:[1,0]
	v_pk_fma_f32 v[18:19], v[62:63], s[8:9], v[20:21] op_sel:[0,0,1] op_sel_hi:[1,0,0]
	v_pk_fma_f32 v[20:21], v[62:63], s[8:9], v[20:21] op_sel:[0,0,1] op_sel_hi:[1,0,0] neg_lo:[0,0,1] neg_hi:[0,0,1]
	v_mov_b32_e32 v24, v18
	v_mov_b32_e32 v25, v21
	v_pk_add_f32 v[28:29], v[24:25], v[22:23]
	v_pk_mul_f32 v[24:25], v[68:69], s[14:15] op_sel_hi:[1,0]
	s_mov_b32 s28, 0x3f29c268
	v_pk_fma_f32 v[22:23], v[66:67], s[12:13], v[24:25] op_sel:[0,0,1] op_sel_hi:[1,0,0]
	v_pk_fma_f32 v[24:25], v[66:67], s[12:13], v[24:25] op_sel:[0,0,1] op_sel_hi:[1,0,0] neg_lo:[0,0,1] neg_hi:[0,0,1]
	v_mov_b32_e32 v26, v22
	v_mov_b32_e32 v27, v25
	v_pk_add_f32 v[30:31], v[26:27], v[28:29]
	v_pk_mul_f32 v[28:29], v[72:73], s[20:21] op_sel_hi:[1,0]
	s_mov_b32 s22, 0x3f7e222b
	v_pk_fma_f32 v[26:27], v[70:71], s[18:19], v[28:29] op_sel:[0,0,1] op_sel_hi:[1,0,0]
	v_pk_fma_f32 v[28:29], v[70:71], s[18:19], v[28:29] op_sel:[0,0,1] op_sel_hi:[1,0,0] neg_lo:[0,0,1] neg_hi:[0,0,1]
	v_mov_b32_e32 v34, v26
	v_mov_b32_e32 v35, v29
	v_pk_add_f32 v[30:31], v[34:35], v[30:31]
	ds_write2_b64 v81, v[32:33], v[30:31] offset1:78
	v_pk_mul_f32 v[32:33], v[48:49], s[16:17] op_sel_hi:[1,0]
	s_mov_b32 s26, 0x3eedf032
	v_pk_fma_f32 v[30:31], v[46:47], s[2:3], v[32:33] op_sel:[0,0,1] op_sel_hi:[1,0,0]
	v_pk_fma_f32 v[32:33], v[46:47], s[2:3], v[32:33] op_sel:[0,0,1] op_sel_hi:[1,0,0] neg_lo:[0,0,1] neg_hi:[0,0,1]
	v_mov_b32_e32 v34, v30
	v_mov_b32_e32 v35, v33
	v_pk_add_f32 v[38:39], v[0:1], v[34:35]
	v_pk_fma_f32 v[34:35], v[50:51], s[8:9], v[36:37] op_sel:[0,0,1] op_sel_hi:[1,0,0]
	v_pk_fma_f32 v[36:37], v[50:51], s[8:9], v[36:37] op_sel:[0,0,1] op_sel_hi:[1,0,0] neg_lo:[0,0,1] neg_hi:[0,0,1]
	v_mov_b32_e32 v40, v34
	v_mov_b32_e32 v41, v37
	v_pk_add_f32 v[42:43], v[40:41], v[38:39]
	v_pk_mul_f32 v[40:41], v[60:61], s[20:21] op_sel_hi:[1,0]
	v_pk_mul_f32 v[112:113], v[52:53], s[20:21] op_sel_hi:[1,0]
	v_pk_fma_f32 v[38:39], v[54:55], s[18:19], v[40:41] op_sel:[0,0,1] op_sel_hi:[1,0,0]
	v_pk_fma_f32 v[40:41], v[54:55], s[18:19], v[40:41] op_sel:[0,0,1] op_sel_hi:[1,0,0] neg_lo:[0,0,1] neg_hi:[0,0,1]
	v_mov_b32_e32 v44, v38
	v_mov_b32_e32 v45, v41
	v_pk_add_f32 v[74:75], v[44:45], v[42:43]
	v_pk_mul_f32 v[44:45], v[64:65], s[28:29] op_sel_hi:[1,0]
	v_pk_fma_f32 v[114:115], v[50:51], s[18:19], v[112:113] op_sel:[0,0,1] op_sel_hi:[1,0,0]
	v_pk_fma_f32 v[42:43], v[62:63], s[12:13], v[44:45] op_sel:[0,0,1] op_sel_hi:[1,0,0]
	v_pk_fma_f32 v[44:45], v[62:63], s[12:13], v[44:45] op_sel:[0,0,1] op_sel_hi:[1,0,0] neg_lo:[0,0,1] neg_hi:[0,0,1]
	v_mov_b32_e32 v76, v42
	v_mov_b32_e32 v77, v45
	v_pk_add_f32 v[74:75], v[76:77], v[74:75]
	v_pk_mul_f32 v[76:77], v[68:69], s[22:23] op_sel_hi:[1,0]
	v_pk_fma_f32 v[112:113], v[50:51], s[18:19], v[112:113] op_sel:[0,0,1] op_sel_hi:[1,0,0] neg_lo:[0,0,1] neg_hi:[0,0,1]
	v_pk_fma_f32 v[78:79], v[66:67], s[6:7], v[76:77] op_sel:[0,0,1] op_sel_hi:[1,0,0]
	v_pk_fma_f32 v[76:77], v[66:67], s[6:7], v[76:77] op_sel:[0,0,1] op_sel_hi:[1,0,0] neg_lo:[0,0,1] neg_hi:[0,0,1]
	v_mov_b32_e32 v82, v78
	v_mov_b32_e32 v83, v77
	v_pk_add_f32 v[74:75], v[82:83], v[74:75]
	v_pk_mul_f32 v[82:83], v[72:73], s[26:27] op_sel_hi:[1,0]
	v_mov_b32_e32 v116, v114
	v_pk_fma_f32 v[84:85], v[70:71], s[0:1], v[82:83] op_sel:[0,0,1] op_sel_hi:[1,0,0]
	v_pk_fma_f32 v[82:83], v[70:71], s[0:1], v[82:83] op_sel:[0,0,1] op_sel_hi:[1,0,0] neg_lo:[0,0,1] neg_hi:[0,0,1]
	v_mov_b32_e32 v86, v84
	v_mov_b32_e32 v87, v83
	v_pk_add_f32 v[74:75], v[86:87], v[74:75]
	v_pk_mul_f32 v[86:87], v[48:49], s[24:25] op_sel_hi:[1,0]
	v_mov_b32_e32 v117, v113
	v_pk_fma_f32 v[88:89], v[46:47], s[6:7], v[86:87] op_sel:[0,0,1] op_sel_hi:[1,0,0]
	v_pk_fma_f32 v[86:87], v[46:47], s[6:7], v[86:87] op_sel:[0,0,1] op_sel_hi:[1,0,0] neg_lo:[0,0,1] neg_hi:[0,0,1]
	v_mov_b32_e32 v110, v88
	v_mov_b32_e32 v111, v87
	v_pk_add_f32 v[110:111], v[0:1], v[110:111]
	s_mov_b32 s30, 0x3f6f5d39
	v_pk_add_f32 v[110:111], v[116:117], v[110:111]
	v_pk_mul_f32 v[116:117], v[60:61], s[30:31] op_sel_hi:[1,0]
	v_pk_mul_f32 v[134:135], v[52:53], s[28:29] op_sel_hi:[1,0]
	v_pk_fma_f32 v[118:119], v[54:55], s[8:9], v[116:117] op_sel:[0,0,1] op_sel_hi:[1,0,0]
	v_pk_fma_f32 v[116:117], v[54:55], s[8:9], v[116:117] op_sel:[0,0,1] op_sel_hi:[1,0,0] neg_lo:[0,0,1] neg_hi:[0,0,1]
	v_mov_b32_e32 v120, v118
	v_mov_b32_e32 v121, v117
	v_pk_add_f32 v[110:111], v[120:121], v[110:111]
	v_pk_mul_f32 v[120:121], v[64:65], s[26:27] op_sel_hi:[1,0]
	v_pk_fma_f32 v[136:137], v[50:51], s[12:13], v[134:135] op_sel:[0,0,1] op_sel_hi:[1,0,0]
	v_pk_fma_f32 v[122:123], v[62:63], s[0:1], v[120:121] op_sel:[0,0,1] op_sel_hi:[1,0,0]
	v_pk_fma_f32 v[120:121], v[62:63], s[0:1], v[120:121] op_sel:[0,0,1] op_sel_hi:[1,0,0] neg_lo:[0,0,1] neg_hi:[0,0,1]
	v_mov_b32_e32 v124, v122
	v_mov_b32_e32 v125, v121
	v_pk_add_f32 v[110:111], v[124:125], v[110:111]
	v_pk_mul_f32 v[124:125], v[68:69], s[16:17] op_sel_hi:[1,0]
	v_pk_fma_f32 v[134:135], v[50:51], s[12:13], v[134:135] op_sel:[0,0,1] op_sel_hi:[1,0,0] neg_lo:[0,0,1] neg_hi:[0,0,1]
	v_pk_fma_f32 v[126:127], v[66:67], s[2:3], v[124:125] op_sel:[0,0,1] op_sel_hi:[1,0,0]
	v_pk_fma_f32 v[124:125], v[66:67], s[2:3], v[124:125] op_sel:[0,0,1] op_sel_hi:[1,0,0] neg_lo:[0,0,1] neg_hi:[0,0,1]
	v_mov_b32_e32 v128, v126
	v_mov_b32_e32 v129, v125
	v_pk_add_f32 v[110:111], v[128:129], v[110:111]
	v_pk_mul_f32 v[128:129], v[72:73], s[14:15] op_sel_hi:[1,0]
	v_mov_b32_e32 v138, v136
	v_pk_fma_f32 v[130:131], v[70:71], s[12:13], v[128:129] op_sel:[0,0,1] op_sel_hi:[1,0,0]
	v_pk_fma_f32 v[128:129], v[70:71], s[12:13], v[128:129] op_sel:[0,0,1] op_sel_hi:[1,0,0] neg_lo:[0,0,1] neg_hi:[0,0,1]
	v_mov_b32_e32 v132, v130
	v_mov_b32_e32 v133, v129
	v_pk_add_f32 v[110:111], v[132:133], v[110:111]
	ds_write2_b64 v81, v[74:75], v[110:111] offset0:156 offset1:234
	v_pk_mul_f32 v[74:75], v[48:49], s[10:11] op_sel_hi:[1,0]
	v_mov_b32_e32 v139, v135
	v_pk_fma_f32 v[110:111], v[46:47], s[8:9], v[74:75] op_sel:[0,0,1] op_sel_hi:[1,0,0]
	v_pk_fma_f32 v[74:75], v[46:47], s[8:9], v[74:75] op_sel:[0,0,1] op_sel_hi:[1,0,0] neg_lo:[0,0,1] neg_hi:[0,0,1]
	v_mov_b32_e32 v132, v110
	v_mov_b32_e32 v133, v75
	v_pk_add_f32 v[132:133], v[0:1], v[132:133]
	s_mov_b32 s28, 0x3f52af12
	v_pk_add_f32 v[132:133], v[138:139], v[132:133]
	v_pk_mul_f32 v[138:139], v[60:61], s[26:27] op_sel_hi:[1,0]
	v_pk_mul_f32 v[160:161], v[52:53], s[22:23] op_sel_hi:[1,0]
	v_pk_fma_f32 v[140:141], v[54:55], s[0:1], v[138:139] op_sel:[0,0,1] op_sel_hi:[1,0,0]
	v_pk_fma_f32 v[138:139], v[54:55], s[0:1], v[138:139] op_sel:[0,0,1] op_sel_hi:[1,0,0] neg_lo:[0,0,1] neg_hi:[0,0,1]
	v_mov_b32_e32 v142, v140
	v_mov_b32_e32 v143, v139
	v_pk_add_f32 v[132:133], v[142:143], v[132:133]
	v_pk_mul_f32 v[142:143], v[64:65], s[24:25] op_sel_hi:[1,0]
	s_mov_b32 s24, 0x3e750f2a
	v_pk_fma_f32 v[144:145], v[62:63], s[6:7], v[142:143] op_sel:[0,0,1] op_sel_hi:[1,0,0]
	v_pk_fma_f32 v[142:143], v[62:63], s[6:7], v[142:143] op_sel:[0,0,1] op_sel_hi:[1,0,0] neg_lo:[0,0,1] neg_hi:[0,0,1]
	v_mov_b32_e32 v146, v144
	v_mov_b32_e32 v147, v143
	v_pk_add_f32 v[132:133], v[146:147], v[132:133]
	v_pk_mul_f32 v[146:147], v[68:69], s[24:25] op_sel_hi:[1,0]
	v_pk_fma_f32 v[162:163], v[50:51], s[6:7], v[160:161] op_sel:[0,0,1] op_sel_hi:[1,0,0]
	v_pk_fma_f32 v[148:149], v[66:67], s[18:19], v[146:147] op_sel:[0,0,1] op_sel_hi:[1,0,0]
	v_pk_fma_f32 v[146:147], v[66:67], s[18:19], v[146:147] op_sel:[0,0,1] op_sel_hi:[1,0,0] neg_lo:[0,0,1] neg_hi:[0,0,1]
	v_mov_b32_e32 v150, v148
	v_mov_b32_e32 v151, v147
	v_pk_add_f32 v[132:133], v[150:151], v[132:133]
	v_pk_mul_f32 v[150:151], v[72:73], s[28:29] op_sel_hi:[1,0]
	v_pk_fma_f32 v[160:161], v[50:51], s[6:7], v[160:161] op_sel:[0,0,1] op_sel_hi:[1,0,0] neg_lo:[0,0,1] neg_hi:[0,0,1]
	v_pk_fma_f32 v[152:153], v[70:71], s[2:3], v[150:151] op_sel:[0,0,1] op_sel_hi:[1,0,0]
	v_pk_fma_f32 v[150:151], v[70:71], s[2:3], v[150:151] op_sel:[0,0,1] op_sel_hi:[1,0,0] neg_lo:[0,0,1] neg_hi:[0,0,1]
	v_mov_b32_e32 v154, v152
	v_mov_b32_e32 v155, v151
	v_pk_add_f32 v[132:133], v[154:155], v[132:133]
	v_pk_mul_f32 v[154:155], v[48:49], s[14:15] op_sel_hi:[1,0]
	v_mov_b32_e32 v164, v162
	v_pk_fma_f32 v[156:157], v[46:47], s[12:13], v[154:155] op_sel:[0,0,1] op_sel_hi:[1,0,0]
	v_pk_fma_f32 v[154:155], v[46:47], s[12:13], v[154:155] op_sel:[0,0,1] op_sel_hi:[1,0,0] neg_lo:[0,0,1] neg_hi:[0,0,1]
	v_mov_b32_e32 v158, v156
	v_mov_b32_e32 v159, v155
	v_pk_add_f32 v[158:159], v[0:1], v[158:159]
	v_mov_b32_e32 v165, v161
	v_pk_add_f32 v[158:159], v[164:165], v[158:159]
	v_pk_mul_f32 v[164:165], v[60:61], s[16:17] op_sel_hi:[1,0]
	v_pk_mul_f32 v[48:49], v[48:49], s[20:21] op_sel_hi:[1,0]
	v_pk_fma_f32 v[166:167], v[54:55], s[2:3], v[164:165] op_sel:[0,0,1] op_sel_hi:[1,0,0]
	v_pk_fma_f32 v[164:165], v[54:55], s[2:3], v[164:165] op_sel:[0,0,1] op_sel_hi:[1,0,0] neg_lo:[0,0,1] neg_hi:[0,0,1]
	v_mov_b32_e32 v168, v166
	v_mov_b32_e32 v169, v165
	v_pk_add_f32 v[158:159], v[168:169], v[158:159]
	v_pk_mul_f32 v[168:169], v[64:65], s[24:25] op_sel_hi:[1,0]
	v_pk_mul_f32 v[52:53], v[52:53], s[26:27] op_sel_hi:[1,0]
	v_pk_fma_f32 v[170:171], v[62:63], s[18:19], v[168:169] op_sel:[0,0,1] op_sel_hi:[1,0,0]
	v_pk_fma_f32 v[168:169], v[62:63], s[18:19], v[168:169] op_sel:[0,0,1] op_sel_hi:[1,0,0] neg_lo:[0,0,1] neg_hi:[0,0,1]
	v_mov_b32_e32 v172, v170
	v_mov_b32_e32 v173, v169
	v_pk_add_f32 v[158:159], v[172:173], v[158:159]
	v_pk_mul_f32 v[172:173], v[68:69], s[26:27] op_sel_hi:[1,0]
	v_mov_b32_e32 v155, v157
	v_pk_fma_f32 v[174:175], v[66:67], s[0:1], v[172:173] op_sel:[0,0,1] op_sel_hi:[1,0,0]
	v_pk_fma_f32 v[172:173], v[66:67], s[0:1], v[172:173] op_sel:[0,0,1] op_sel_hi:[1,0,0] neg_lo:[0,0,1] neg_hi:[0,0,1]
	v_mov_b32_e32 v176, v174
	v_mov_b32_e32 v177, v173
	v_pk_add_f32 v[158:159], v[176:177], v[158:159]
	v_pk_mul_f32 v[176:177], v[72:73], s[10:11] op_sel_hi:[1,0]
	v_mov_b32_e32 v75, v111
	v_pk_fma_f32 v[178:179], v[70:71], s[8:9], v[176:177] op_sel:[0,0,1] op_sel_hi:[1,0,0]
	v_pk_fma_f32 v[176:177], v[70:71], s[8:9], v[176:177] op_sel:[0,0,1] op_sel_hi:[1,0,0] neg_lo:[0,0,1] neg_hi:[0,0,1]
	v_mov_b32_e32 v180, v178
	v_mov_b32_e32 v181, v177
	v_pk_add_f32 v[158:159], v[180:181], v[158:159]
	ds_write2_b64 v59, v[132:133], v[158:159] offset0:56 offset1:134
	v_pk_fma_f32 v[132:133], v[46:47], s[18:19], v[48:49] op_sel:[0,0,1] op_sel_hi:[1,0,0]
	v_pk_fma_f32 v[46:47], v[46:47], s[18:19], v[48:49] op_sel:[0,0,1] op_sel_hi:[1,0,0] neg_lo:[0,0,1] neg_hi:[0,0,1]
	v_mov_b32_e32 v48, v132
	v_mov_b32_e32 v49, v47
	v_pk_fma_f32 v[158:159], v[50:51], s[0:1], v[52:53] op_sel:[0,0,1] op_sel_hi:[1,0,0]
	v_pk_fma_f32 v[50:51], v[50:51], s[0:1], v[52:53] op_sel:[0,0,1] op_sel_hi:[1,0,0] neg_lo:[0,0,1] neg_hi:[0,0,1]
	v_pk_add_f32 v[48:49], v[0:1], v[48:49]
	v_mov_b32_e32 v52, v158
	v_mov_b32_e32 v53, v51
	v_pk_add_f32 v[48:49], v[52:53], v[48:49]
	v_pk_mul_f32 v[52:53], v[60:61], s[14:15] op_sel_hi:[1,0]
	v_mov_b32_e32 v47, v133
	v_pk_fma_f32 v[60:61], v[54:55], s[12:13], v[52:53] op_sel:[0,0,1] op_sel_hi:[1,0,0]
	v_pk_fma_f32 v[52:53], v[54:55], s[12:13], v[52:53] op_sel:[0,0,1] op_sel_hi:[1,0,0] neg_lo:[0,0,1] neg_hi:[0,0,1]
	v_mov_b32_e32 v54, v60
	v_mov_b32_e32 v55, v53
	v_pk_add_f32 v[48:49], v[54:55], v[48:49]
	v_pk_mul_f32 v[54:55], v[64:65], s[28:29] op_sel_hi:[1,0]
	v_pk_add_f32 v[46:47], v[0:1], v[46:47]
	v_pk_fma_f32 v[64:65], v[62:63], s[2:3], v[54:55] op_sel:[0,0,1] op_sel_hi:[1,0,0]
	v_pk_fma_f32 v[54:55], v[62:63], s[2:3], v[54:55] op_sel:[0,0,1] op_sel_hi:[1,0,0] neg_lo:[0,0,1] neg_hi:[0,0,1]
	v_mov_b32_e32 v62, v64
	v_mov_b32_e32 v63, v55
	v_pk_add_f32 v[48:49], v[62:63], v[48:49]
	v_pk_mul_f32 v[62:63], v[68:69], s[10:11] op_sel_hi:[1,0]
	v_mov_b32_e32 v51, v159
	v_pk_fma_f32 v[68:69], v[66:67], s[8:9], v[62:63] op_sel:[0,0,1] op_sel_hi:[1,0,0]
	v_pk_fma_f32 v[62:63], v[66:67], s[8:9], v[62:63] op_sel:[0,0,1] op_sel_hi:[1,0,0] neg_lo:[0,0,1] neg_hi:[0,0,1]
	v_mov_b32_e32 v66, v68
	v_mov_b32_e32 v67, v63
	v_pk_add_f32 v[46:47], v[50:51], v[46:47]
	v_mov_b32_e32 v53, v61
	v_pk_add_f32 v[48:49], v[66:67], v[48:49]
	v_pk_mul_f32 v[66:67], v[72:73], s[22:23] op_sel_hi:[1,0]
	v_pk_add_f32 v[46:47], v[52:53], v[46:47]
	v_mov_b32_e32 v55, v65
	v_pk_fma_f32 v[72:73], v[70:71], s[6:7], v[66:67] op_sel:[0,0,1] op_sel_hi:[1,0,0]
	v_pk_fma_f32 v[66:67], v[70:71], s[6:7], v[66:67] op_sel:[0,0,1] op_sel_hi:[1,0,0] neg_lo:[0,0,1] neg_hi:[0,0,1]
	v_pk_add_f32 v[46:47], v[54:55], v[46:47]
	v_mov_b32_e32 v63, v69
	v_mov_b32_e32 v70, v72
	;; [unrolled: 1-line block ×3, first 2 shown]
	v_pk_add_f32 v[46:47], v[62:63], v[46:47]
	v_mov_b32_e32 v67, v73
	v_pk_add_f32 v[48:49], v[70:71], v[48:49]
	v_pk_add_f32 v[46:47], v[66:67], v[46:47]
	ds_write2_b64 v58, v[48:49], v[46:47] offset0:84 offset1:162
	v_pk_add_f32 v[46:47], v[0:1], v[154:155]
	v_mov_b32_e32 v161, v163
	v_pk_add_f32 v[48:49], v[0:1], v[74:75]
	v_mov_b32_e32 v135, v137
	;; [unrolled: 2-line block ×10, first 2 shown]
	v_pk_add_f32 v[46:47], v[176:177], v[46:47]
	v_pk_add_f32 v[48:49], v[150:151], v[48:49]
	v_mov_b32_e32 v87, v89
	v_mov_b32_e32 v33, v31
	;; [unrolled: 1-line block ×3, first 2 shown]
	ds_write2_b64 v57, v[46:47], v[48:49] offset0:112 offset1:190
	v_pk_add_f32 v[46:47], v[0:1], v[86:87]
	v_mov_b32_e32 v113, v115
	v_pk_add_f32 v[30:31], v[0:1], v[32:33]
	v_mov_b32_e32 v37, v35
	;; [unrolled: 2-line block ×15, first 2 shown]
	v_pk_add_f32 v[46:47], v[128:129], v[46:47]
	v_pk_add_f32 v[30:31], v[82:83], v[30:31]
	;; [unrolled: 1-line block ×3, first 2 shown]
	ds_write2_b64 v56, v[46:47], v[30:31] offset0:12 offset1:90
	ds_write_b64 v81, v[0:1] offset:7488
	s_waitcnt lgkmcnt(0)
	s_barrier
	ds_read2_b64 v[0:3], v81 offset1:78
	v_mov_b32_e32 v8, v7
	v_mad_u64_u32 v[8:9], s[0:1], s7, v80, v[8:9]
	v_mov_b32_e32 v7, v8
	s_waitcnt lgkmcnt(0)
	v_mul_f32_e32 v8, v101, v1
	v_fmac_f32_e32 v8, v100, v0
	v_mul_f32_e32 v0, v101, v0
	s_mov_b32 s0, 0xfc7729e9
	v_fma_f32 v0, v100, v1, -v0
	v_cvt_f64_f32_e32 v[8:9], v8
	s_mov_b32 s1, 0x3f502864
	v_cvt_f64_f32_e32 v[0:1], v0
	v_mul_f64 v[8:9], v[8:9], s[0:1]
	v_mul_f64 v[0:1], v[0:1], s[0:1]
	v_accvgpr_read_b32 v12, a6
	v_cvt_f32_f64_e32 v8, v[8:9]
	v_cvt_f32_f64_e32 v9, v[0:1]
	v_mad_u64_u32 v[0:1], s[2:3], s4, v12, 0
	v_mov_b32_e32 v10, v1
	v_mov_b32_e32 v5, s13
	v_mad_u64_u32 v[10:11], s[2:3], s5, v12, v[10:11]
	v_mov_b32_e32 v1, v10
	v_lshl_add_u64 v[4:5], v[6:7], 3, v[4:5]
	v_lshl_add_u64 v[4:5], v[0:1], 3, v[4:5]
	v_mul_f32_e32 v0, v109, v3
	v_fmac_f32_e32 v0, v108, v2
	v_cvt_f64_f32_e32 v[0:1], v0
	v_mul_f64 v[0:1], v[0:1], s[0:1]
	v_cvt_f32_f64_e32 v6, v[0:1]
	v_mul_f32_e32 v0, v109, v2
	v_fma_f32 v0, v108, v3, -v0
	v_cvt_f64_f32_e32 v[0:1], v0
	v_mul_f64 v[0:1], v[0:1], s[0:1]
	v_cvt_f32_f64_e32 v7, v[0:1]
	ds_read2_b64 v[0:3], v81 offset0:156 offset1:234
	global_store_dwordx2 v[4:5], v[8:9], off
	v_mov_b32_e32 v8, 0x270
	v_mad_u64_u32 v[4:5], s[2:3], s4, v8, v[4:5]
	s_mul_i32 s2, s5, 0x270
	s_nop 0
	v_add_u32_e32 v5, s2, v5
	global_store_dwordx2 v[4:5], v[6:7], off
	s_waitcnt lgkmcnt(0)
	v_mul_f32_e32 v6, v107, v1
	v_fmac_f32_e32 v6, v106, v0
	v_mul_f32_e32 v0, v107, v0
	v_fma_f32 v0, v106, v1, -v0
	v_cvt_f64_f32_e32 v[6:7], v6
	v_cvt_f64_f32_e32 v[0:1], v0
	v_mul_f64 v[6:7], v[6:7], s[0:1]
	v_mul_f64 v[0:1], v[0:1], s[0:1]
	v_cvt_f32_f64_e32 v6, v[6:7]
	v_cvt_f32_f64_e32 v7, v[0:1]
	v_mul_f32_e32 v0, v105, v3
	v_fmac_f32_e32 v0, v104, v2
	v_mad_u64_u32 v[4:5], s[6:7], s4, v8, v[4:5]
	v_cvt_f64_f32_e32 v[0:1], v0
	v_add_u32_e32 v5, s2, v5
	v_mul_f64 v[0:1], v[0:1], s[0:1]
	global_store_dwordx2 v[4:5], v[6:7], off
	v_cvt_f32_f64_e32 v6, v[0:1]
	v_mul_f32_e32 v0, v105, v2
	v_fma_f32 v0, v104, v3, -v0
	v_cvt_f64_f32_e32 v[0:1], v0
	v_mul_f64 v[0:1], v[0:1], s[0:1]
	v_cvt_f32_f64_e32 v7, v[0:1]
	ds_read2_b64 v[0:3], v59 offset0:56 offset1:134
	v_mad_u64_u32 v[4:5], s[6:7], s4, v8, v[4:5]
	v_add_u32_e32 v5, s2, v5
	global_store_dwordx2 v[4:5], v[6:7], off
	s_waitcnt lgkmcnt(0)
	v_mul_f32_e32 v6, v99, v1
	v_fmac_f32_e32 v6, v98, v0
	v_mul_f32_e32 v0, v99, v0
	v_fma_f32 v0, v98, v1, -v0
	v_cvt_f64_f32_e32 v[6:7], v6
	v_cvt_f64_f32_e32 v[0:1], v0
	v_mul_f64 v[6:7], v[6:7], s[0:1]
	v_mul_f64 v[0:1], v[0:1], s[0:1]
	v_cvt_f32_f64_e32 v6, v[6:7]
	v_cvt_f32_f64_e32 v7, v[0:1]
	v_mul_f32_e32 v0, v95, v3
	v_fmac_f32_e32 v0, v94, v2
	v_mad_u64_u32 v[4:5], s[6:7], s4, v8, v[4:5]
	v_cvt_f64_f32_e32 v[0:1], v0
	v_add_u32_e32 v5, s2, v5
	v_mul_f64 v[0:1], v[0:1], s[0:1]
	global_store_dwordx2 v[4:5], v[6:7], off
	v_cvt_f32_f64_e32 v6, v[0:1]
	v_mul_f32_e32 v0, v95, v2
	v_fma_f32 v0, v94, v3, -v0
	v_cvt_f64_f32_e32 v[0:1], v0
	v_mul_f64 v[0:1], v[0:1], s[0:1]
	v_cvt_f32_f64_e32 v7, v[0:1]
	ds_read2_b64 v[0:3], v58 offset0:84 offset1:162
	v_mad_u64_u32 v[4:5], s[6:7], s4, v8, v[4:5]
	v_add_u32_e32 v5, s2, v5
	v_accvgpr_read_b32 v11, a9
	global_store_dwordx2 v[4:5], v[6:7], off
	v_accvgpr_read_b32 v10, a8
	s_waitcnt lgkmcnt(0)
	v_mul_f32_e32 v6, v11, v1
	v_fmac_f32_e32 v6, v10, v0
	v_mul_f32_e32 v0, v11, v0
	v_fma_f32 v0, v10, v1, -v0
	v_cvt_f64_f32_e32 v[6:7], v6
	v_cvt_f64_f32_e32 v[0:1], v0
	v_mul_f64 v[6:7], v[6:7], s[0:1]
	v_mul_f64 v[0:1], v[0:1], s[0:1]
	v_cvt_f32_f64_e32 v6, v[6:7]
	v_cvt_f32_f64_e32 v7, v[0:1]
	v_mul_f32_e32 v0, v103, v3
	v_fmac_f32_e32 v0, v102, v2
	v_mad_u64_u32 v[4:5], s[6:7], s4, v8, v[4:5]
	v_cvt_f64_f32_e32 v[0:1], v0
	v_add_u32_e32 v5, s2, v5
	v_mul_f64 v[0:1], v[0:1], s[0:1]
	global_store_dwordx2 v[4:5], v[6:7], off
	v_cvt_f32_f64_e32 v6, v[0:1]
	v_mul_f32_e32 v0, v103, v2
	v_fma_f32 v0, v102, v3, -v0
	v_cvt_f64_f32_e32 v[0:1], v0
	v_mul_f64 v[0:1], v[0:1], s[0:1]
	v_cvt_f32_f64_e32 v7, v[0:1]
	ds_read2_b64 v[0:3], v57 offset0:112 offset1:190
	v_mad_u64_u32 v[4:5], s[6:7], s4, v8, v[4:5]
	v_add_u32_e32 v5, s2, v5
	global_store_dwordx2 v[4:5], v[6:7], off
	s_waitcnt lgkmcnt(0)
	v_mul_f32_e32 v6, v97, v1
	v_fmac_f32_e32 v6, v96, v0
	v_mul_f32_e32 v0, v97, v0
	v_fma_f32 v0, v96, v1, -v0
	v_cvt_f64_f32_e32 v[6:7], v6
	v_cvt_f64_f32_e32 v[0:1], v0
	v_mul_f64 v[6:7], v[6:7], s[0:1]
	v_mul_f64 v[0:1], v[0:1], s[0:1]
	v_cvt_f32_f64_e32 v6, v[6:7]
	v_cvt_f32_f64_e32 v7, v[0:1]
	v_mul_f32_e32 v0, v93, v3
	v_fmac_f32_e32 v0, v92, v2
	v_mad_u64_u32 v[4:5], s[6:7], s4, v8, v[4:5]
	v_cvt_f64_f32_e32 v[0:1], v0
	v_add_u32_e32 v5, s2, v5
	v_mul_f64 v[0:1], v[0:1], s[0:1]
	global_store_dwordx2 v[4:5], v[6:7], off
	v_cvt_f32_f64_e32 v6, v[0:1]
	v_mul_f32_e32 v0, v93, v2
	v_fma_f32 v0, v92, v3, -v0
	v_cvt_f64_f32_e32 v[0:1], v0
	v_mul_f64 v[0:1], v[0:1], s[0:1]
	v_cvt_f32_f64_e32 v7, v[0:1]
	ds_read2_b64 v[0:3], v56 offset0:12 offset1:90
	v_mad_u64_u32 v[4:5], s[6:7], s4, v8, v[4:5]
	v_add_u32_e32 v5, s2, v5
	v_accvgpr_read_b32 v11, a5
	global_store_dwordx2 v[4:5], v[6:7], off
	v_accvgpr_read_b32 v10, a4
	s_waitcnt lgkmcnt(0)
	v_mul_f32_e32 v6, v11, v1
	v_fmac_f32_e32 v6, v10, v0
	v_mul_f32_e32 v0, v11, v0
	v_fma_f32 v0, v10, v1, -v0
	v_cvt_f64_f32_e32 v[6:7], v6
	v_cvt_f64_f32_e32 v[0:1], v0
	v_mul_f64 v[6:7], v[6:7], s[0:1]
	v_mul_f64 v[0:1], v[0:1], s[0:1]
	v_cvt_f32_f64_e32 v6, v[6:7]
	v_cvt_f32_f64_e32 v7, v[0:1]
	v_mad_u64_u32 v[0:1], s[6:7], s4, v8, v[4:5]
	v_mul_f32_e32 v4, v91, v3
	v_fmac_f32_e32 v4, v90, v2
	v_mul_f32_e32 v2, v91, v2
	v_fma_f32 v2, v90, v3, -v2
	v_cvt_f64_f32_e32 v[4:5], v4
	v_cvt_f64_f32_e32 v[2:3], v2
	v_mul_f64 v[4:5], v[4:5], s[0:1]
	v_mul_f64 v[2:3], v[2:3], s[0:1]
	v_cvt_f32_f64_e32 v4, v[4:5]
	v_cvt_f32_f64_e32 v5, v[2:3]
	ds_read_b64 v[2:3], v81 offset:7488
	v_add_u32_e32 v1, s2, v1
	global_store_dwordx2 v[0:1], v[6:7], off
	v_mad_u64_u32 v[0:1], s[6:7], s4, v8, v[0:1]
	v_add_u32_e32 v1, s2, v1
	v_accvgpr_read_b32 v7, a3
	global_store_dwordx2 v[0:1], v[4:5], off
	v_accvgpr_read_b32 v6, a2
	s_waitcnt lgkmcnt(0)
	v_mul_f32_e32 v4, v7, v3
	v_fmac_f32_e32 v4, v6, v2
	v_mul_f32_e32 v2, v7, v2
	v_fma_f32 v2, v6, v3, -v2
	v_cvt_f64_f32_e32 v[4:5], v4
	v_cvt_f64_f32_e32 v[2:3], v2
	v_mul_f64 v[4:5], v[4:5], s[0:1]
	v_mul_f64 v[2:3], v[2:3], s[0:1]
	v_mad_u64_u32 v[0:1], s[0:1], s4, v8, v[0:1]
	v_cvt_f32_f64_e32 v4, v[4:5]
	v_cvt_f32_f64_e32 v5, v[2:3]
	v_add_u32_e32 v1, s2, v1
	global_store_dwordx2 v[0:1], v[4:5], off
.LBB0_12:
	s_endpgm
	.section	.rodata,"a",@progbits
	.p2align	6, 0x0
	.amdhsa_kernel bluestein_single_back_len1014_dim1_sp_op_CI_CI
		.amdhsa_group_segment_fixed_size 16224
		.amdhsa_private_segment_fixed_size 0
		.amdhsa_kernarg_size 104
		.amdhsa_user_sgpr_count 2
		.amdhsa_user_sgpr_dispatch_ptr 0
		.amdhsa_user_sgpr_queue_ptr 0
		.amdhsa_user_sgpr_kernarg_segment_ptr 1
		.amdhsa_user_sgpr_dispatch_id 0
		.amdhsa_user_sgpr_kernarg_preload_length 0
		.amdhsa_user_sgpr_kernarg_preload_offset 0
		.amdhsa_user_sgpr_private_segment_size 0
		.amdhsa_uses_dynamic_stack 0
		.amdhsa_enable_private_segment 0
		.amdhsa_system_sgpr_workgroup_id_x 1
		.amdhsa_system_sgpr_workgroup_id_y 0
		.amdhsa_system_sgpr_workgroup_id_z 0
		.amdhsa_system_sgpr_workgroup_info 0
		.amdhsa_system_vgpr_workitem_id 0
		.amdhsa_next_free_vgpr 266
		.amdhsa_next_free_sgpr 54
		.amdhsa_accum_offset 256
		.amdhsa_reserve_vcc 1
		.amdhsa_float_round_mode_32 0
		.amdhsa_float_round_mode_16_64 0
		.amdhsa_float_denorm_mode_32 3
		.amdhsa_float_denorm_mode_16_64 3
		.amdhsa_dx10_clamp 1
		.amdhsa_ieee_mode 1
		.amdhsa_fp16_overflow 0
		.amdhsa_tg_split 0
		.amdhsa_exception_fp_ieee_invalid_op 0
		.amdhsa_exception_fp_denorm_src 0
		.amdhsa_exception_fp_ieee_div_zero 0
		.amdhsa_exception_fp_ieee_overflow 0
		.amdhsa_exception_fp_ieee_underflow 0
		.amdhsa_exception_fp_ieee_inexact 0
		.amdhsa_exception_int_div_zero 0
	.end_amdhsa_kernel
	.text
.Lfunc_end0:
	.size	bluestein_single_back_len1014_dim1_sp_op_CI_CI, .Lfunc_end0-bluestein_single_back_len1014_dim1_sp_op_CI_CI
                                        ; -- End function
	.section	.AMDGPU.csdata,"",@progbits
; Kernel info:
; codeLenInByte = 17472
; NumSgprs: 60
; NumVgprs: 256
; NumAgprs: 10
; TotalNumVgprs: 266
; ScratchSize: 0
; MemoryBound: 0
; FloatMode: 240
; IeeeMode: 1
; LDSByteSize: 16224 bytes/workgroup (compile time only)
; SGPRBlocks: 7
; VGPRBlocks: 33
; NumSGPRsForWavesPerEU: 60
; NumVGPRsForWavesPerEU: 266
; AccumOffset: 256
; Occupancy: 1
; WaveLimiterHint : 1
; COMPUTE_PGM_RSRC2:SCRATCH_EN: 0
; COMPUTE_PGM_RSRC2:USER_SGPR: 2
; COMPUTE_PGM_RSRC2:TRAP_HANDLER: 0
; COMPUTE_PGM_RSRC2:TGID_X_EN: 1
; COMPUTE_PGM_RSRC2:TGID_Y_EN: 0
; COMPUTE_PGM_RSRC2:TGID_Z_EN: 0
; COMPUTE_PGM_RSRC2:TIDIG_COMP_CNT: 0
; COMPUTE_PGM_RSRC3_GFX90A:ACCUM_OFFSET: 63
; COMPUTE_PGM_RSRC3_GFX90A:TG_SPLIT: 0
	.text
	.p2alignl 6, 3212836864
	.fill 256, 4, 3212836864
	.type	__hip_cuid_243a79890d7e31d5,@object ; @__hip_cuid_243a79890d7e31d5
	.section	.bss,"aw",@nobits
	.globl	__hip_cuid_243a79890d7e31d5
__hip_cuid_243a79890d7e31d5:
	.byte	0                               ; 0x0
	.size	__hip_cuid_243a79890d7e31d5, 1

	.ident	"AMD clang version 19.0.0git (https://github.com/RadeonOpenCompute/llvm-project roc-6.4.0 25133 c7fe45cf4b819c5991fe208aaa96edf142730f1d)"
	.section	".note.GNU-stack","",@progbits
	.addrsig
	.addrsig_sym __hip_cuid_243a79890d7e31d5
	.amdgpu_metadata
---
amdhsa.kernels:
  - .agpr_count:     10
    .args:
      - .actual_access:  read_only
        .address_space:  global
        .offset:         0
        .size:           8
        .value_kind:     global_buffer
      - .actual_access:  read_only
        .address_space:  global
        .offset:         8
        .size:           8
        .value_kind:     global_buffer
      - .actual_access:  read_only
        .address_space:  global
        .offset:         16
        .size:           8
        .value_kind:     global_buffer
      - .actual_access:  read_only
        .address_space:  global
        .offset:         24
        .size:           8
        .value_kind:     global_buffer
      - .actual_access:  read_only
        .address_space:  global
        .offset:         32
        .size:           8
        .value_kind:     global_buffer
      - .offset:         40
        .size:           8
        .value_kind:     by_value
      - .address_space:  global
        .offset:         48
        .size:           8
        .value_kind:     global_buffer
      - .address_space:  global
        .offset:         56
        .size:           8
        .value_kind:     global_buffer
      - .address_space:  global
        .offset:         64
        .size:           8
        .value_kind:     global_buffer
      - .address_space:  global
        .offset:         72
        .size:           8
        .value_kind:     global_buffer
      - .offset:         80
        .size:           4
        .value_kind:     by_value
      - .address_space:  global
        .offset:         88
        .size:           8
        .value_kind:     global_buffer
      - .address_space:  global
        .offset:         96
        .size:           8
        .value_kind:     global_buffer
    .group_segment_fixed_size: 16224
    .kernarg_segment_align: 8
    .kernarg_segment_size: 104
    .language:       OpenCL C
    .language_version:
      - 2
      - 0
    .max_flat_workgroup_size: 156
    .name:           bluestein_single_back_len1014_dim1_sp_op_CI_CI
    .private_segment_fixed_size: 0
    .sgpr_count:     60
    .sgpr_spill_count: 0
    .symbol:         bluestein_single_back_len1014_dim1_sp_op_CI_CI.kd
    .uniform_work_group_size: 1
    .uses_dynamic_stack: false
    .vgpr_count:     266
    .vgpr_spill_count: 0
    .wavefront_size: 64
amdhsa.target:   amdgcn-amd-amdhsa--gfx950
amdhsa.version:
  - 1
  - 2
...

	.end_amdgpu_metadata
